;; amdgpu-corpus repo=ROCm/rocFFT kind=compiled arch=gfx906 opt=O3
	.text
	.amdgcn_target "amdgcn-amd-amdhsa--gfx906"
	.amdhsa_code_object_version 6
	.protected	bluestein_single_fwd_len550_dim1_sp_op_CI_CI ; -- Begin function bluestein_single_fwd_len550_dim1_sp_op_CI_CI
	.globl	bluestein_single_fwd_len550_dim1_sp_op_CI_CI
	.p2align	8
	.type	bluestein_single_fwd_len550_dim1_sp_op_CI_CI,@function
bluestein_single_fwd_len550_dim1_sp_op_CI_CI: ; @bluestein_single_fwd_len550_dim1_sp_op_CI_CI
; %bb.0:
	s_load_dwordx4 s[0:3], s[4:5], 0x28
	v_mul_u32_u24_e32 v1, 0x4a8, v0
	v_add_u32_sdwa v55, s6, v1 dst_sel:DWORD dst_unused:UNUSED_PAD src0_sel:DWORD src1_sel:WORD_1
	v_mov_b32_e32 v56, 0
	s_waitcnt lgkmcnt(0)
	v_cmp_gt_u64_e32 vcc, s[0:1], v[55:56]
	s_and_saveexec_b64 s[0:1], vcc
	s_cbranch_execz .LBB0_15
; %bb.1:
	s_load_dwordx2 s[8:9], s[4:5], 0x0
	s_load_dwordx2 s[10:11], s[4:5], 0x38
	v_mov_b32_e32 v2, 55
	v_mul_lo_u16_sdwa v1, v1, v2 dst_sel:DWORD dst_unused:UNUSED_PAD src0_sel:WORD_1 src1_sel:DWORD
	v_sub_u16_e32 v63, v0, v1
	v_cmp_gt_u16_e64 s[0:1], 50, v63
	v_lshlrev_b32_e32 v62, 3, v63
	s_and_saveexec_b64 s[6:7], s[0:1]
	s_cbranch_execz .LBB0_3
; %bb.2:
	s_load_dwordx2 s[12:13], s[4:5], 0x18
	s_waitcnt lgkmcnt(0)
	s_load_dwordx4 s[12:15], s[12:13], 0x0
	s_waitcnt lgkmcnt(0)
	v_mad_u64_u32 v[0:1], s[16:17], s14, v55, 0
	v_mad_u64_u32 v[2:3], s[16:17], s12, v63, 0
	;; [unrolled: 1-line block ×4, first 2 shown]
	v_mov_b32_e32 v1, v4
	v_lshlrev_b64 v[0:1], 3, v[0:1]
	v_mov_b32_e32 v3, v5
	v_mov_b32_e32 v6, s3
	v_lshlrev_b64 v[2:3], 3, v[2:3]
	v_add_co_u32_e32 v0, vcc, s2, v0
	v_addc_co_u32_e32 v1, vcc, v6, v1, vcc
	v_add_co_u32_e32 v0, vcc, v0, v2
	s_mul_i32 s2, s13, 0x190
	s_mul_hi_u32 s3, s12, 0x190
	v_addc_co_u32_e32 v1, vcc, v1, v3, vcc
	s_add_i32 s2, s3, s2
	s_mul_i32 s3, s12, 0x190
	v_mov_b32_e32 v3, s2
	v_add_co_u32_e32 v2, vcc, s3, v0
	v_addc_co_u32_e32 v3, vcc, v1, v3, vcc
	v_mov_b32_e32 v5, s2
	v_add_co_u32_e32 v4, vcc, s3, v2
	v_addc_co_u32_e32 v5, vcc, v3, v5, vcc
	;; [unrolled: 3-line block ×3, first 2 shown]
	global_load_dwordx2 v[8:9], v[0:1], off
	global_load_dwordx2 v[10:11], v[2:3], off
	;; [unrolled: 1-line block ×4, first 2 shown]
	global_load_dwordx2 v[16:17], v62, s[8:9]
	global_load_dwordx2 v[18:19], v62, s[8:9] offset:400
	global_load_dwordx2 v[20:21], v62, s[8:9] offset:800
	;; [unrolled: 1-line block ×3, first 2 shown]
	v_mov_b32_e32 v1, s2
	v_add_co_u32_e32 v0, vcc, s3, v6
	v_addc_co_u32_e32 v1, vcc, v7, v1, vcc
	global_load_dwordx2 v[2:3], v[0:1], off
	global_load_dwordx2 v[4:5], v62, s[8:9] offset:1600
	v_mov_b32_e32 v6, s2
	v_add_co_u32_e32 v0, vcc, s3, v0
	v_addc_co_u32_e32 v1, vcc, v1, v6, vcc
	global_load_dwordx2 v[6:7], v[0:1], off
	v_mov_b32_e32 v24, s2
	v_add_co_u32_e32 v0, vcc, s3, v0
	v_addc_co_u32_e32 v1, vcc, v1, v24, vcc
	global_load_dwordx2 v[24:25], v[0:1], off
	v_mov_b32_e32 v26, s2
	v_add_co_u32_e32 v0, vcc, s3, v0
	v_addc_co_u32_e32 v1, vcc, v1, v26, vcc
	global_load_dwordx2 v[26:27], v62, s[8:9] offset:2000
	global_load_dwordx2 v[28:29], v[0:1], off
	global_load_dwordx2 v[30:31], v62, s[8:9] offset:2400
	global_load_dwordx2 v[32:33], v62, s[8:9] offset:2800
	v_mov_b32_e32 v34, s2
	v_add_co_u32_e32 v0, vcc, s3, v0
	v_addc_co_u32_e32 v1, vcc, v1, v34, vcc
	global_load_dwordx2 v[34:35], v[0:1], off
	v_mov_b32_e32 v36, s2
	v_add_co_u32_e32 v0, vcc, s3, v0
	v_addc_co_u32_e32 v1, vcc, v1, v36, vcc
	global_load_dwordx2 v[36:37], v62, s[8:9] offset:3200
	global_load_dwordx2 v[38:39], v[0:1], off
	global_load_dwordx2 v[40:41], v62, s[8:9] offset:3600
	v_mov_b32_e32 v42, s2
	v_add_co_u32_e32 v0, vcc, s3, v0
	v_addc_co_u32_e32 v1, vcc, v1, v42, vcc
	global_load_dwordx2 v[42:43], v62, s[8:9] offset:4000
	global_load_dwordx2 v[44:45], v[0:1], off
	s_waitcnt vmcnt(17)
	v_mul_f32_e32 v0, v9, v17
	v_mul_f32_e32 v1, v8, v17
	v_fmac_f32_e32 v0, v8, v16
	v_fma_f32 v1, v9, v16, -v1
	s_waitcnt vmcnt(16)
	v_mul_f32_e32 v8, v11, v19
	v_mul_f32_e32 v9, v10, v19
	v_fmac_f32_e32 v8, v10, v18
	v_fma_f32 v9, v11, v18, -v9
	ds_write2_b64 v62, v[0:1], v[8:9] offset1:50
	s_waitcnt vmcnt(15)
	v_mul_f32_e32 v0, v13, v21
	v_mul_f32_e32 v1, v12, v21
	s_waitcnt vmcnt(14)
	v_mul_f32_e32 v8, v15, v23
	v_mul_f32_e32 v9, v14, v23
	v_fmac_f32_e32 v0, v12, v20
	v_fma_f32 v1, v13, v20, -v1
	v_fmac_f32_e32 v8, v14, v22
	v_fma_f32 v9, v15, v22, -v9
	ds_write2_b64 v62, v[0:1], v[8:9] offset0:100 offset1:150
	s_waitcnt vmcnt(12)
	v_mul_f32_e32 v0, v3, v5
	v_mul_f32_e32 v1, v2, v5
	v_fmac_f32_e32 v0, v2, v4
	v_fma_f32 v1, v3, v4, -v1
	v_add_u32_e32 v4, 0x800, v62
	s_waitcnt vmcnt(9)
	v_mul_f32_e32 v2, v7, v27
	v_mul_f32_e32 v3, v6, v27
	v_fmac_f32_e32 v2, v6, v26
	v_fma_f32 v3, v7, v26, -v3
	ds_write2_b64 v62, v[0:1], v[2:3] offset0:200 offset1:250
	s_waitcnt vmcnt(7)
	v_mul_f32_e32 v0, v25, v31
	v_mul_f32_e32 v1, v24, v31
	s_waitcnt vmcnt(6)
	v_mul_f32_e32 v2, v29, v33
	v_mul_f32_e32 v3, v28, v33
	v_fmac_f32_e32 v0, v24, v30
	v_fma_f32 v1, v25, v30, -v1
	v_fmac_f32_e32 v2, v28, v32
	v_fma_f32 v3, v29, v32, -v3
	ds_write2_b64 v4, v[0:1], v[2:3] offset0:44 offset1:94
	s_waitcnt vmcnt(4)
	v_mul_f32_e32 v0, v35, v37
	v_mul_f32_e32 v1, v34, v37
	s_waitcnt vmcnt(2)
	v_mul_f32_e32 v2, v39, v41
	v_mul_f32_e32 v3, v38, v41
	v_fmac_f32_e32 v0, v34, v36
	v_fma_f32 v1, v35, v36, -v1
	v_fmac_f32_e32 v2, v38, v40
	v_fma_f32 v3, v39, v40, -v3
	ds_write2_b64 v4, v[0:1], v[2:3] offset0:144 offset1:194
	s_waitcnt vmcnt(0)
	v_mul_f32_e32 v0, v45, v43
	v_mul_f32_e32 v1, v44, v43
	v_fmac_f32_e32 v0, v44, v42
	v_fma_f32 v1, v45, v42, -v1
	ds_write_b64 v62, v[0:1] offset:4000
.LBB0_3:
	s_or_b64 exec, exec, s[6:7]
	s_load_dwordx2 s[6:7], s[4:5], 0x20
	s_load_dwordx2 s[2:3], s[4:5], 0x8
	v_mov_b32_e32 v0, 0
	v_mov_b32_e32 v1, 0
	s_waitcnt lgkmcnt(0)
	; wave barrier
	s_waitcnt lgkmcnt(0)
                                        ; implicit-def: $vgpr8
                                        ; implicit-def: $vgpr4
                                        ; implicit-def: $vgpr20
                                        ; implicit-def: $vgpr14
                                        ; implicit-def: $vgpr18
	s_and_saveexec_b64 s[4:5], s[0:1]
	s_cbranch_execz .LBB0_5
; %bb.4:
	v_add_u32_e32 v4, 0x800, v62
	ds_read2_b64 v[0:3], v62 offset1:50
	ds_read2_b64 v[16:19], v62 offset0:100 offset1:150
	ds_read2_b64 v[12:15], v62 offset0:200 offset1:250
	;; [unrolled: 1-line block ×4, first 2 shown]
	ds_read_b64 v[20:21], v62 offset:4000
.LBB0_5:
	s_or_b64 exec, exec, s[4:5]
	s_waitcnt lgkmcnt(0)
	v_sub_f32_e32 v38, v3, v21
	v_mul_f32_e32 v32, 0xbf0a6770, v38
	v_add_f32_e32 v22, v20, v2
	v_sub_f32_e32 v43, v2, v20
	v_mov_b32_e32 v23, v32
	v_add_f32_e32 v24, v21, v3
	s_mov_b32 s12, 0x3f575c64
	v_mul_f32_e32 v34, 0xbf0a6770, v43
	v_fmac_f32_e32 v23, 0x3f575c64, v22
	v_sub_f32_e32 v41, v17, v7
	v_add_f32_e32 v25, v23, v0
	v_fma_f32 v23, v24, s12, -v34
	v_mul_f32_e32 v33, 0xbf68dda4, v41
	v_add_f32_e32 v27, v23, v1
	v_add_f32_e32 v23, v6, v16
	v_sub_f32_e32 v46, v16, v6
	v_mov_b32_e32 v28, v33
	v_add_f32_e32 v26, v7, v17
	s_mov_b32 s13, 0x3ed4b147
	v_mul_f32_e32 v36, 0xbf68dda4, v46
	v_fmac_f32_e32 v28, 0x3ed4b147, v23
	v_sub_f32_e32 v44, v19, v5
	v_add_f32_e32 v29, v28, v25
	v_fma_f32 v25, v26, s13, -v36
	v_mul_f32_e32 v35, 0xbf7d64f0, v44
	v_add_f32_e32 v27, v25, v27
	;; [unrolled: 12-line block ×4, first 2 shown]
	v_add_f32_e32 v29, v8, v14
	v_sub_f32_e32 v50, v14, v8
	v_mov_b32_e32 v54, v40
	v_add_f32_e32 v31, v9, v15
	s_mov_b32 s16, 0xbf75a155
	v_mul_f32_e32 v45, 0xbe903f40, v50
	v_fmac_f32_e32 v54, 0xbf75a155, v29
	v_add_f32_e32 v56, v54, v52
	v_fma_f32 v52, v31, s16, -v45
	v_add_f32_e32 v57, v52, v53
	v_mul_lo_u16_e32 v64, 11, v63
	s_waitcnt lgkmcnt(0)
	; wave barrier
	s_and_saveexec_b64 s[4:5], s[0:1]
	s_cbranch_execz .LBB0_7
; %bb.6:
	v_mul_f32_e32 v52, 0xbe903f40, v43
	v_mov_b32_e32 v53, v52
	v_mul_f32_e32 v54, 0x3f0a6770, v46
	v_add_f32_e32 v2, v2, v0
	v_fmac_f32_e32 v53, 0xbf75a155, v24
	v_mov_b32_e32 v58, v54
	v_add_f32_e32 v3, v3, v1
	v_add_f32_e32 v2, v16, v2
	v_mul_f32_e32 v16, 0xbf4178ce, v48
	v_add_f32_e32 v53, v53, v1
	v_fmac_f32_e32 v58, 0x3f575c64, v26
	v_add_f32_e32 v3, v17, v3
	v_mov_b32_e32 v17, v16
	v_add_f32_e32 v53, v58, v53
	v_add_f32_e32 v3, v19, v3
	;; [unrolled: 1-line block ×3, first 2 shown]
	v_fmac_f32_e32 v17, 0xbf27a4f4, v28
	v_add_f32_e32 v17, v17, v53
	v_mul_f32_e32 v18, 0x3f68dda4, v51
	v_mul_f32_e32 v53, 0xbe903f40, v38
	v_add_f32_e32 v3, v13, v3
	v_add_f32_e32 v2, v12, v2
	v_mov_b32_e32 v19, v18
	v_add_f32_e32 v13, v15, v3
	v_add_f32_e32 v2, v14, v2
	v_fma_f32 v3, v22, s16, -v53
	v_mul_f32_e32 v14, 0x3f0a6770, v41
	v_fmac_f32_e32 v19, 0x3ed4b147, v30
	v_add_f32_e32 v3, v3, v0
	v_fma_f32 v12, v23, s12, -v14
	v_mul_f32_e32 v15, 0xbf4178ce, v44
	v_add_f32_e32 v17, v19, v17
	v_mul_f32_e32 v19, 0xbf7d64f0, v50
	v_add_f32_e32 v3, v12, v3
	v_fma_f32 v12, v25, s15, -v15
	v_add_f32_e32 v12, v12, v3
	v_mov_b32_e32 v3, v19
	v_fmac_f32_e32 v3, 0xbe11bafb, v31
	v_add_f32_e32 v3, v3, v17
	v_add_f32_e32 v2, v8, v2
	v_mul_f32_e32 v17, 0x3f68dda4, v47
	v_add_f32_e32 v8, v10, v2
	v_fma_f32 v2, v27, s13, -v17
	v_mul_f32_e32 v58, 0xbf7d64f0, v49
	v_add_f32_e32 v2, v2, v12
	v_fma_f32 v10, v29, s14, -v58
	v_mul_f32_e32 v59, 0xbf4178ce, v43
	v_add_f32_e32 v9, v9, v13
	v_add_f32_e32 v2, v10, v2
	v_mov_b32_e32 v10, v59
	v_mul_f32_e32 v60, 0x3f7d64f0, v46
	v_add_f32_e32 v9, v11, v9
	v_fmac_f32_e32 v10, 0xbf27a4f4, v24
	v_mov_b32_e32 v11, v60
	v_add_f32_e32 v4, v4, v8
	v_mul_f32_e32 v61, 0xbf0a6770, v48
	v_add_f32_e32 v10, v10, v1
	v_fmac_f32_e32 v11, 0xbe11bafb, v26
	v_add_f32_e32 v5, v5, v9
	v_add_f32_e32 v4, v6, v4
	v_mov_b32_e32 v6, v61
	v_mul_f32_e32 v65, 0xbe903f40, v51
	v_add_f32_e32 v10, v11, v10
	v_add_f32_e32 v5, v7, v5
	v_fmac_f32_e32 v6, 0x3f575c64, v28
	v_mov_b32_e32 v7, v65
	v_add_f32_e32 v6, v6, v10
	v_fmac_f32_e32 v7, 0xbf75a155, v30
	v_mul_f32_e32 v66, 0xbf4178ce, v38
	v_add_f32_e32 v6, v7, v6
	v_add_f32_e32 v4, v20, v4
	v_fma_f32 v7, v22, s15, -v66
	v_mul_f32_e32 v20, 0x3f7d64f0, v41
	v_add_f32_e32 v5, v21, v5
	v_add_f32_e32 v7, v7, v0
	v_fma_f32 v8, v23, s14, -v20
	v_mul_f32_e32 v21, 0xbf0a6770, v44
	v_add_f32_e32 v7, v8, v7
	v_fma_f32 v8, v25, s12, -v21
	v_mul_f32_e32 v67, 0xbe903f40, v47
	;; [unrolled: 3-line block ×3, first 2 shown]
	v_add_f32_e32 v8, v8, v7
	v_mov_b32_e32 v7, v68
	v_fmac_f32_e32 v7, 0x3ed4b147, v31
	v_mul_f32_e32 v69, 0x3f68dda4, v49
	v_add_f32_e32 v7, v7, v6
	v_fma_f32 v6, v29, s13, -v69
	v_mul_f32_e32 v70, 0xbf7d64f0, v43
	v_add_f32_e32 v6, v6, v8
	v_mov_b32_e32 v8, v70
	v_mul_f32_e32 v71, 0x3e903f40, v46
	v_fmac_f32_e32 v8, 0xbe11bafb, v24
	v_mov_b32_e32 v9, v71
	v_add_f32_e32 v8, v8, v1
	v_fmac_f32_e32 v9, 0xbf75a155, v26
	v_mul_f32_e32 v72, 0x3f68dda4, v48
	v_add_f32_e32 v8, v9, v8
	v_mov_b32_e32 v9, v72
	v_fmac_f32_e32 v9, 0x3ed4b147, v28
	v_mul_f32_e32 v73, 0xbf0a6770, v51
	v_add_f32_e32 v8, v9, v8
	v_mov_b32_e32 v9, v73
	v_fmac_f32_e32 v9, 0x3f575c64, v30
	v_mul_f32_e32 v74, 0xbf7d64f0, v38
	v_add_f32_e32 v8, v9, v8
	v_fma_f32 v9, v22, s14, -v74
	v_mul_f32_e32 v75, 0x3e903f40, v41
	v_add_f32_e32 v9, v9, v0
	v_fma_f32 v10, v23, s16, -v75
	;; [unrolled: 3-line block ×4, first 2 shown]
	v_mul_f32_e32 v78, 0xbf4178ce, v50
	v_add_f32_e32 v10, v10, v9
	v_mov_b32_e32 v9, v78
	v_fmac_f32_e32 v9, 0xbf27a4f4, v31
	v_mul_f32_e32 v79, 0xbf4178ce, v49
	v_add_f32_e32 v9, v9, v8
	v_fma_f32 v8, v29, s15, -v79
	v_mul_f32_e32 v43, 0xbf68dda4, v43
	v_add_f32_e32 v8, v8, v10
	v_mov_b32_e32 v10, v43
	v_mul_f32_e32 v46, 0xbf4178ce, v46
	v_fmac_f32_e32 v10, 0x3ed4b147, v24
	v_mov_b32_e32 v11, v46
	v_add_f32_e32 v10, v10, v1
	v_fmac_f32_e32 v11, 0xbf27a4f4, v26
	v_mul_f32_e32 v48, 0x3e903f40, v48
	v_add_f32_e32 v10, v11, v10
	v_mov_b32_e32 v11, v48
	v_fmac_f32_e32 v11, 0xbf75a155, v28
	v_mul_f32_e32 v51, 0x3f7d64f0, v51
	v_add_f32_e32 v10, v11, v10
	v_mov_b32_e32 v11, v51
	v_fmac_f32_e32 v11, 0xbe11bafb, v30
	v_mul_f32_e32 v38, 0xbf68dda4, v38
	v_add_f32_e32 v10, v11, v10
	v_fma_f32 v11, v22, s13, -v38
	v_mul_f32_e32 v41, 0xbf4178ce, v41
	v_add_f32_e32 v11, v11, v0
	v_fma_f32 v12, v23, s15, -v41
	;; [unrolled: 3-line block ×4, first 2 shown]
	v_mul_f32_e32 v50, 0x3f0a6770, v50
	v_add_f32_e32 v12, v12, v11
	v_mov_b32_e32 v11, v50
	v_fmac_f32_e32 v11, 0x3f575c64, v31
	v_mul_f32_e32 v49, 0x3f0a6770, v49
	v_add_f32_e32 v11, v11, v10
	v_fma_f32 v10, v29, s12, -v49
	v_add_f32_e32 v10, v10, v12
	v_mul_f32_e32 v12, 0x3f575c64, v24
	v_add_f32_e32 v12, v34, v12
	v_mul_f32_e32 v34, 0x3f575c64, v22
	v_mul_f32_e32 v13, 0x3ed4b147, v26
	v_sub_f32_e32 v32, v34, v32
	v_mul_f32_e32 v34, 0x3ed4b147, v23
	v_add_f32_e32 v13, v36, v13
	v_add_f32_e32 v12, v12, v1
	v_sub_f32_e32 v33, v34, v33
	v_add_f32_e32 v32, v32, v0
	v_add_f32_e32 v12, v13, v12
	v_mul_f32_e32 v13, 0xbe11bafb, v28
	v_add_f32_e32 v32, v33, v32
	v_mul_f32_e32 v33, 0xbe11bafb, v25
	v_add_f32_e32 v13, v39, v13
	v_sub_f32_e32 v33, v33, v35
	v_add_f32_e32 v12, v13, v12
	v_mul_f32_e32 v13, 0xbf27a4f4, v30
	v_add_f32_e32 v32, v33, v32
	v_mul_f32_e32 v33, 0xbf27a4f4, v27
	v_add_f32_e32 v13, v42, v13
	v_sub_f32_e32 v33, v33, v37
	;; [unrolled: 6-line block ×3, first 2 shown]
	v_add_f32_e32 v13, v13, v12
	v_add_f32_e32 v12, v33, v32
	v_fma_f32 v32, v24, s16, -v52
	v_add_f32_e32 v32, v32, v1
	v_fma_f32 v33, v26, s12, -v54
	;; [unrolled: 2-line block ×4, first 2 shown]
	v_fmac_f32_e32 v53, 0xbf75a155, v22
	v_add_f32_e32 v16, v18, v16
	v_add_f32_e32 v18, v53, v0
	v_fmac_f32_e32 v14, 0x3f575c64, v23
	v_add_f32_e32 v14, v14, v18
	v_fmac_f32_e32 v15, 0xbf27a4f4, v25
	v_add_f32_e32 v14, v15, v14
	v_fma_f32 v15, v31, s14, -v19
	v_fmac_f32_e32 v17, 0x3ed4b147, v27
	v_add_f32_e32 v15, v15, v16
	v_fma_f32 v16, v24, s15, -v59
	v_add_f32_e32 v14, v17, v14
	v_add_f32_e32 v16, v16, v1
	v_fma_f32 v17, v26, s14, -v60
	v_add_f32_e32 v16, v17, v16
	v_fma_f32 v17, v28, s12, -v61
	;; [unrolled: 2-line block ×3, first 2 shown]
	v_fma_f32 v18, v24, s14, -v70
	v_add_f32_e32 v16, v17, v16
	v_fma_f32 v17, v31, s13, -v68
	v_fmac_f32_e32 v66, 0xbf27a4f4, v22
	v_add_f32_e32 v18, v18, v1
	v_fma_f32 v19, v26, s16, -v71
	v_add_f32_e32 v17, v17, v16
	v_add_f32_e32 v16, v66, v0
	v_fmac_f32_e32 v20, 0xbe11bafb, v23
	v_add_f32_e32 v18, v19, v18
	v_fma_f32 v19, v28, s13, -v72
	v_add_f32_e32 v16, v20, v16
	v_add_f32_e32 v18, v19, v18
	v_fma_f32 v19, v30, s12, -v73
	v_fma_f32 v20, v24, s13, -v43
	v_add_f32_e32 v18, v19, v18
	v_fma_f32 v19, v31, s15, -v78
	v_fmac_f32_e32 v74, 0xbe11bafb, v22
	v_add_f32_e32 v1, v20, v1
	v_fma_f32 v20, v26, s15, -v46
	v_fmac_f32_e32 v38, 0x3ed4b147, v22
	v_add_f32_e32 v19, v19, v18
	v_add_f32_e32 v18, v74, v0
	v_fmac_f32_e32 v75, 0xbf75a155, v23
	v_add_f32_e32 v1, v20, v1
	v_fma_f32 v20, v28, s16, -v48
	v_add_f32_e32 v0, v38, v0
	v_fmac_f32_e32 v41, 0xbf27a4f4, v23
	v_fmac_f32_e32 v21, 0x3f575c64, v25
	v_add_f32_e32 v18, v75, v18
	v_fmac_f32_e32 v76, 0x3ed4b147, v25
	v_add_f32_e32 v1, v20, v1
	v_fma_f32 v20, v30, s14, -v51
	v_add_f32_e32 v0, v41, v0
	v_fmac_f32_e32 v44, 0xbf75a155, v25
	v_add_f32_e32 v16, v21, v16
	v_fmac_f32_e32 v67, 0xbf75a155, v27
	v_add_f32_e32 v18, v76, v18
	v_fmac_f32_e32 v77, 0x3f575c64, v27
	v_add_f32_e32 v1, v20, v1
	v_fma_f32 v20, v31, s12, -v50
	v_add_f32_e32 v0, v44, v0
	v_fmac_f32_e32 v47, 0xbe11bafb, v27
	v_fmac_f32_e32 v58, 0xbe11bafb, v29
	v_add_f32_e32 v16, v67, v16
	v_fmac_f32_e32 v69, 0x3ed4b147, v29
	v_add_f32_e32 v18, v77, v18
	;; [unrolled: 2-line block ×3, first 2 shown]
	v_add_f32_e32 v0, v47, v0
	v_fmac_f32_e32 v49, 0x3f575c64, v29
	v_lshlrev_b32_e32 v20, 3, v64
	v_add_f32_e32 v14, v58, v14
	v_add_f32_e32 v16, v69, v16
	v_add_f32_e32 v18, v79, v18
	v_add_f32_e32 v0, v49, v0
	ds_write2_b64 v20, v[4:5], v[12:13] offset1:1
	ds_write2_b64 v20, v[10:11], v[8:9] offset0:2 offset1:3
	ds_write2_b64 v20, v[6:7], v[2:3] offset0:4 offset1:5
	ds_write2_b64 v20, v[14:15], v[16:17] offset0:6 offset1:7
	ds_write2_b64 v20, v[18:19], v[0:1] offset0:8 offset1:9
	ds_write_b64 v20, v[56:57] offset:80
.LBB0_7:
	s_or_b64 exec, exec, s[4:5]
	s_movk_i32 s4, 0x75
	v_mul_lo_u16_sdwa v0, v63, s4 dst_sel:DWORD dst_unused:UNUSED_PAD src0_sel:BYTE_0 src1_sel:DWORD
	v_sub_u16_sdwa v1, v63, v0 dst_sel:DWORD dst_unused:UNUSED_PAD src0_sel:DWORD src1_sel:BYTE_1
	v_lshrrev_b16_e32 v1, 1, v1
	v_and_b32_e32 v1, 0x7f, v1
	v_add_u16_sdwa v0, v1, v0 dst_sel:DWORD dst_unused:UNUSED_PAD src0_sel:DWORD src1_sel:BYTE_1
	v_lshrrev_b16_e32 v36, 3, v0
	v_mul_lo_u16_e32 v0, 11, v36
	v_sub_u16_e32 v0, v63, v0
	v_and_b32_e32 v37, 0xff, v0
	v_mov_b32_e32 v0, s2
	s_movk_i32 s4, 0x48
	v_mov_b32_e32 v1, s3
	v_mad_u64_u32 v[16:17], s[4:5], v37, s4, v[0:1]
	s_load_dwordx4 s[4:7], s[6:7], 0x0
	s_waitcnt lgkmcnt(0)
	; wave barrier
	s_waitcnt lgkmcnt(0)
	global_load_dwordx4 v[12:15], v[16:17], off
	global_load_dwordx4 v[8:11], v[16:17], off offset:16
	global_load_dwordx4 v[4:7], v[16:17], off offset:32
	;; [unrolled: 1-line block ×3, first 2 shown]
	global_load_dwordx2 v[58:59], v[16:17], off offset:64
	v_add_u32_e32 v44, 0x400, v62
	ds_read2_b64 v[16:19], v62 offset1:55
	ds_read2_b64 v[20:23], v62 offset0:110 offset1:165
	v_add_u32_e32 v43, 0x800, v62
	ds_read2_b64 v[24:27], v44 offset0:92 offset1:147
	ds_read2_b64 v[28:31], v43 offset0:74 offset1:129
	;; [unrolled: 1-line block ×3, first 2 shown]
	s_mov_b32 s14, 0x3f737871
	s_mov_b32 s15, 0x3f167918
	;; [unrolled: 1-line block ×4, first 2 shown]
	v_mul_u32_u24_e32 v36, 0x6e, v36
	v_lshlrev_b32_e32 v38, 5, v63
	s_waitcnt lgkmcnt(0)
	; wave barrier
	s_waitcnt vmcnt(4) lgkmcnt(0)
	v_mul_f32_e32 v39, v19, v13
	v_mul_f32_e32 v40, v18, v13
	;; [unrolled: 1-line block ×3, first 2 shown]
	s_waitcnt vmcnt(3)
	v_mul_f32_e32 v45, v23, v9
	v_mul_f32_e32 v47, v25, v11
	s_waitcnt vmcnt(2)
	v_mul_f32_e32 v51, v29, v7
	s_waitcnt vmcnt(1)
	v_mul_f32_e32 v60, v33, v3
	v_mul_f32_e32 v42, v20, v15
	;; [unrolled: 1-line block ×6, first 2 shown]
	v_fma_f32 v39, v18, v12, -v39
	v_fmac_f32_e32 v40, v19, v12
	v_fma_f32 v18, v20, v14, -v41
	v_fma_f32 v19, v22, v8, -v45
	;; [unrolled: 1-line block ×5, first 2 shown]
	v_mul_f32_e32 v50, v26, v5
	v_mul_f32_e32 v52, v28, v7
	;; [unrolled: 1-line block ×3, first 2 shown]
	s_waitcnt vmcnt(0)
	v_mul_f32_e32 v65, v35, v59
	v_fmac_f32_e32 v46, v23, v8
	v_fma_f32 v23, v30, v0, -v53
	v_fmac_f32_e32 v54, v31, v0
	v_sub_f32_e32 v30, v18, v20
	v_sub_f32_e32 v31, v24, v22
	v_add_f32_e32 v32, v18, v24
	v_mul_f32_e32 v49, v27, v5
	v_mul_f32_e32 v66, v34, v59
	v_fmac_f32_e32 v48, v25, v10
	v_fmac_f32_e32 v50, v27, v4
	;; [unrolled: 1-line block ×4, first 2 shown]
	v_fma_f32 v25, v34, v58, -v65
	v_add_f32_e32 v27, v20, v22
	v_sub_f32_e32 v33, v20, v18
	v_sub_f32_e32 v34, v22, v24
	v_add_f32_e32 v30, v30, v31
	v_fma_f32 v31, -0.5, v32, v16
	v_fmac_f32_e32 v42, v21, v14
	v_fma_f32 v21, v26, v4, -v49
	v_add_f32_e32 v26, v16, v18
	v_sub_f32_e32 v29, v48, v52
	v_fma_f32 v27, -0.5, v27, v16
	v_add_f32_e32 v16, v33, v34
	v_mov_b32_e32 v34, v31
	v_fmac_f32_e32 v66, v35, v58
	v_sub_f32_e32 v28, v42, v61
	v_add_f32_e32 v35, v17, v42
	v_fmac_f32_e32 v31, 0x3f737871, v29
	v_fmac_f32_e32 v34, 0xbf737871, v29
	v_add_f32_e32 v32, v35, v48
	v_mov_b32_e32 v33, v27
	v_fmac_f32_e32 v31, 0xbf167918, v28
	v_fmac_f32_e32 v34, 0x3f167918, v28
	;; [unrolled: 1-line block ×6, first 2 shown]
	v_add_f32_e32 v16, v32, v52
	v_fmac_f32_e32 v27, 0xbf167918, v29
	v_fmac_f32_e32 v33, 0x3f167918, v29
	v_add_f32_e32 v29, v16, v61
	v_add_f32_e32 v16, v48, v52
	v_fma_f32 v35, -0.5, v16, v17
	v_add_f32_e32 v26, v26, v20
	v_sub_f32_e32 v16, v18, v24
	v_mov_b32_e32 v41, v35
	v_add_f32_e32 v26, v26, v22
	v_fmac_f32_e32 v41, 0xbf737871, v16
	v_sub_f32_e32 v18, v20, v22
	v_sub_f32_e32 v20, v42, v48
	;; [unrolled: 1-line block ×3, first 2 shown]
	v_fmac_f32_e32 v35, 0x3f737871, v16
	v_fmac_f32_e32 v41, 0xbf167918, v18
	v_add_f32_e32 v20, v20, v22
	v_fmac_f32_e32 v35, 0x3f167918, v18
	v_fmac_f32_e32 v41, 0x3e9e377a, v20
	;; [unrolled: 1-line block ×3, first 2 shown]
	v_add_f32_e32 v20, v42, v61
	v_fma_f32 v45, -0.5, v20, v17
	v_mov_b32_e32 v47, v45
	v_fmac_f32_e32 v47, 0x3f737871, v18
	v_fmac_f32_e32 v45, 0xbf737871, v18
	;; [unrolled: 1-line block ×4, first 2 shown]
	v_add_f32_e32 v16, v39, v19
	v_add_f32_e32 v16, v16, v21
	v_add_f32_e32 v16, v16, v23
	v_add_f32_e32 v28, v16, v25
	v_add_f32_e32 v16, v21, v23
	v_fmac_f32_e32 v27, 0x3e9e377a, v30
	v_fmac_f32_e32 v33, 0x3e9e377a, v30
	v_sub_f32_e32 v17, v48, v42
	v_sub_f32_e32 v20, v52, v61
	v_fma_f32 v30, -0.5, v16, v39
	v_add_f32_e32 v17, v17, v20
	v_sub_f32_e32 v16, v46, v66
	v_mov_b32_e32 v32, v30
	v_fmac_f32_e32 v47, 0x3e9e377a, v17
	v_fmac_f32_e32 v45, 0x3e9e377a, v17
	;; [unrolled: 1-line block ×3, first 2 shown]
	v_sub_f32_e32 v17, v50, v54
	v_sub_f32_e32 v18, v19, v21
	;; [unrolled: 1-line block ×3, first 2 shown]
	v_fmac_f32_e32 v30, 0xbf737871, v16
	v_fmac_f32_e32 v32, 0x3f167918, v17
	v_add_f32_e32 v18, v18, v20
	v_fmac_f32_e32 v30, 0xbf167918, v17
	v_fmac_f32_e32 v32, 0x3e9e377a, v18
	;; [unrolled: 1-line block ×3, first 2 shown]
	v_add_f32_e32 v18, v19, v25
	v_fmac_f32_e32 v39, -0.5, v18
	v_mov_b32_e32 v42, v39
	v_fmac_f32_e32 v42, 0xbf737871, v17
	v_fmac_f32_e32 v39, 0x3f737871, v17
	;; [unrolled: 1-line block ×4, first 2 shown]
	v_add_f32_e32 v16, v40, v46
	v_add_f32_e32 v16, v16, v50
	v_add_f32_e32 v16, v16, v54
	v_add_f32_e32 v48, v16, v66
	v_add_f32_e32 v16, v50, v54
	v_sub_f32_e32 v18, v21, v19
	v_sub_f32_e32 v20, v23, v25
	v_fma_f32 v49, -0.5, v16, v40
	v_add_f32_e32 v18, v18, v20
	v_sub_f32_e32 v16, v19, v25
	v_mov_b32_e32 v19, v49
	v_fmac_f32_e32 v42, 0x3e9e377a, v18
	v_fmac_f32_e32 v39, 0x3e9e377a, v18
	;; [unrolled: 1-line block ×3, first 2 shown]
	v_sub_f32_e32 v17, v21, v23
	v_sub_f32_e32 v18, v46, v50
	;; [unrolled: 1-line block ×3, first 2 shown]
	v_fmac_f32_e32 v49, 0x3f737871, v16
	v_fmac_f32_e32 v19, 0xbf167918, v17
	v_add_f32_e32 v18, v18, v20
	v_fmac_f32_e32 v49, 0x3f167918, v17
	v_fmac_f32_e32 v19, 0x3e9e377a, v18
	;; [unrolled: 1-line block ×3, first 2 shown]
	v_add_f32_e32 v18, v46, v66
	v_fmac_f32_e32 v40, -0.5, v18
	v_mov_b32_e32 v21, v40
	v_fmac_f32_e32 v21, 0x3f737871, v17
	v_sub_f32_e32 v18, v50, v46
	v_sub_f32_e32 v20, v54, v66
	v_fmac_f32_e32 v40, 0xbf737871, v17
	v_fmac_f32_e32 v21, 0xbf167918, v16
	v_add_f32_e32 v18, v18, v20
	v_fmac_f32_e32 v40, 0x3f167918, v16
	v_fmac_f32_e32 v21, 0x3e9e377a, v18
	;; [unrolled: 1-line block ×3, first 2 shown]
	v_mul_f32_e32 v17, 0x3e9e377a, v39
	v_mul_f32_e32 v46, 0x3f167918, v19
	;; [unrolled: 1-line block ×3, first 2 shown]
	v_fma_f32 v51, v40, s14, -v17
	v_mul_f32_e32 v17, 0x3f4f1bbd, v30
	v_mul_f32_e32 v53, 0xbf167918, v32
	;; [unrolled: 1-line block ×3, first 2 shown]
	v_add_f32_e32 v26, v26, v24
	v_fmac_f32_e32 v46, 0x3f4f1bbd, v32
	v_fmac_f32_e32 v50, 0x3e9e377a, v42
	v_fma_f32 v52, v49, s15, -v17
	v_fmac_f32_e32 v53, 0x3f4f1bbd, v19
	v_mul_f32_e32 v42, 0xbf737871, v42
	v_mul_f32_e32 v23, 0x3e9e377a, v40
	v_fma_f32 v40, v30, s13, -v25
	v_add_f32_e32 v16, v26, v28
	v_add_f32_e32 v18, v33, v46
	v_add_f32_e32 v20, v34, v50
	v_add_f32_e32 v24, v27, v52
	v_add_f32_e32 v17, v29, v48
	v_add_f32_e32 v19, v41, v53
	v_fmac_f32_e32 v42, 0x3e9e377a, v21
	v_fma_f32 v39, v39, s12, -v23
	v_add_f32_e32 v25, v35, v40
	v_sub_f32_e32 v26, v26, v28
	v_sub_f32_e32 v30, v34, v50
	;; [unrolled: 1-line block ×4, first 2 shown]
	v_add_lshl_u32 v65, v36, v37, 3
	v_add_f32_e32 v22, v31, v51
	v_add_f32_e32 v21, v47, v42
	;; [unrolled: 1-line block ×3, first 2 shown]
	v_sub_f32_e32 v28, v33, v46
	v_sub_f32_e32 v32, v31, v51
	;; [unrolled: 1-line block ×6, first 2 shown]
	ds_write2_b64 v65, v[16:17], v[18:19] offset1:11
	ds_write2_b64 v65, v[20:21], v[22:23] offset0:22 offset1:33
	ds_write2_b64 v65, v[24:25], v[26:27] offset0:44 offset1:55
	;; [unrolled: 1-line block ×4, first 2 shown]
	s_waitcnt lgkmcnt(0)
	; wave barrier
	s_waitcnt lgkmcnt(0)
	global_load_dwordx4 v[24:27], v38, s[2:3] offset:792
	global_load_dwordx4 v[16:19], v38, s[2:3] offset:808
	v_add_u32_e32 v32, 0x6e0, v38
	global_load_dwordx4 v[28:31], v32, s[2:3] offset:792
	global_load_dwordx4 v[20:23], v32, s[2:3] offset:808
	ds_read2_b64 v[39:42], v62 offset0:110 offset1:165
	ds_read2_b64 v[35:38], v62 offset1:55
	ds_read2_b64 v[45:48], v44 offset0:92 offset1:147
	ds_read2_b64 v[49:52], v43 offset0:74 offset1:129
	ds_read2_b64 v[66:69], v43 offset0:184 offset1:239
	s_waitcnt vmcnt(3) lgkmcnt(4)
	v_mul_f32_e32 v32, v40, v25
	v_fma_f32 v53, v39, v24, -v32
	s_waitcnt lgkmcnt(2)
	v_mul_f32_e32 v32, v46, v27
	v_fma_f32 v60, v45, v26, -v32
	v_mul_f32_e32 v45, v45, v27
	s_waitcnt vmcnt(2) lgkmcnt(1)
	v_mul_f32_e32 v32, v50, v17
	v_fmac_f32_e32 v45, v46, v26
	v_fma_f32 v46, v49, v16, -v32
	v_mul_f32_e32 v61, v49, v17
	s_waitcnt lgkmcnt(0)
	v_mul_f32_e32 v32, v67, v19
	v_mul_f32_e32 v54, v39, v25
	v_fmac_f32_e32 v61, v50, v16
	v_fma_f32 v50, v66, v18, -v32
	v_mul_f32_e32 v66, v66, v19
	v_add_f32_e32 v33, v60, v46
	v_fmac_f32_e32 v54, v40, v24
	v_fmac_f32_e32 v66, v67, v18
	v_fma_f32 v39, -0.5, v33, v35
	s_waitcnt vmcnt(1)
	v_mul_f32_e32 v32, v42, v29
	v_mul_f32_e32 v70, v41, v29
	v_sub_f32_e32 v33, v54, v66
	v_mov_b32_e32 v34, v39
	v_fma_f32 v67, v41, v28, -v32
	v_fmac_f32_e32 v70, v42, v28
	v_fmac_f32_e32 v34, 0x3f737871, v33
	v_sub_f32_e32 v40, v45, v61
	v_sub_f32_e32 v41, v53, v60
	;; [unrolled: 1-line block ×3, first 2 shown]
	v_fmac_f32_e32 v39, 0xbf737871, v33
	v_fmac_f32_e32 v34, 0x3f167918, v40
	v_add_f32_e32 v41, v41, v42
	v_fmac_f32_e32 v39, 0xbf167918, v40
	v_mul_f32_e32 v32, v48, v31
	v_fmac_f32_e32 v34, 0x3e9e377a, v41
	v_fmac_f32_e32 v39, 0x3e9e377a, v41
	v_add_f32_e32 v41, v53, v50
	v_fma_f32 v71, v47, v30, -v32
	s_waitcnt vmcnt(0)
	v_mul_f32_e32 v32, v52, v21
	v_fma_f32 v49, -0.5, v41, v35
	v_mul_f32_e32 v72, v47, v31
	v_fma_f32 v73, v51, v20, -v32
	v_mul_f32_e32 v74, v51, v21
	v_mul_f32_e32 v32, v69, v23
	v_mov_b32_e32 v47, v49
	v_fmac_f32_e32 v74, v52, v20
	v_fma_f32 v52, v68, v22, -v32
	v_add_f32_e32 v32, v35, v53
	v_fmac_f32_e32 v47, 0xbf737871, v40
	v_sub_f32_e32 v35, v60, v53
	v_sub_f32_e32 v41, v46, v50
	v_fmac_f32_e32 v49, 0x3f737871, v40
	v_fmac_f32_e32 v47, 0x3f167918, v33
	v_add_f32_e32 v35, v35, v41
	v_fmac_f32_e32 v49, 0xbf167918, v33
	v_fmac_f32_e32 v47, 0x3e9e377a, v35
	;; [unrolled: 1-line block ×3, first 2 shown]
	v_add_f32_e32 v35, v45, v61
	v_fma_f32 v40, -0.5, v35, v36
	v_add_f32_e32 v32, v32, v60
	v_sub_f32_e32 v41, v53, v50
	v_mov_b32_e32 v35, v40
	v_fmac_f32_e32 v72, v48, v30
	v_add_f32_e32 v32, v32, v46
	v_fmac_f32_e32 v35, 0xbf737871, v41
	v_sub_f32_e32 v42, v60, v46
	v_sub_f32_e32 v46, v54, v45
	;; [unrolled: 1-line block ×3, first 2 shown]
	v_fmac_f32_e32 v40, 0x3f737871, v41
	v_fmac_f32_e32 v35, 0xbf167918, v42
	v_add_f32_e32 v46, v46, v48
	v_fmac_f32_e32 v40, 0x3f167918, v42
	v_fmac_f32_e32 v35, 0x3e9e377a, v46
	;; [unrolled: 1-line block ×3, first 2 shown]
	v_add_f32_e32 v46, v54, v66
	v_add_f32_e32 v32, v32, v50
	v_fma_f32 v50, -0.5, v46, v36
	v_add_f32_e32 v33, v36, v54
	v_mov_b32_e32 v48, v50
	v_add_f32_e32 v33, v33, v45
	v_fmac_f32_e32 v48, 0x3f737871, v42
	v_sub_f32_e32 v36, v45, v54
	v_sub_f32_e32 v45, v61, v66
	v_fmac_f32_e32 v50, 0xbf737871, v42
	v_fmac_f32_e32 v48, 0xbf167918, v41
	v_add_f32_e32 v36, v36, v45
	v_fmac_f32_e32 v50, 0x3f167918, v41
	v_fmac_f32_e32 v48, 0x3e9e377a, v36
	;; [unrolled: 1-line block ×3, first 2 shown]
	v_add_f32_e32 v36, v37, v67
	v_add_f32_e32 v36, v36, v71
	;; [unrolled: 1-line block ×3, first 2 shown]
	v_mul_f32_e32 v68, v68, v23
	v_add_f32_e32 v41, v36, v52
	v_add_f32_e32 v36, v71, v73
	v_fmac_f32_e32 v68, v69, v22
	v_fma_f32 v45, -0.5, v36, v37
	v_sub_f32_e32 v36, v70, v68
	v_mov_b32_e32 v51, v45
	v_fmac_f32_e32 v51, 0x3f737871, v36
	v_sub_f32_e32 v42, v72, v74
	v_sub_f32_e32 v46, v67, v71
	;; [unrolled: 1-line block ×3, first 2 shown]
	v_fmac_f32_e32 v45, 0xbf737871, v36
	v_fmac_f32_e32 v51, 0x3f167918, v42
	v_add_f32_e32 v46, v46, v53
	v_fmac_f32_e32 v45, 0xbf167918, v42
	v_fmac_f32_e32 v51, 0x3e9e377a, v46
	;; [unrolled: 1-line block ×3, first 2 shown]
	v_add_f32_e32 v46, v67, v52
	v_fma_f32 v37, -0.5, v46, v37
	v_mov_b32_e32 v53, v37
	v_fmac_f32_e32 v53, 0xbf737871, v42
	v_fmac_f32_e32 v37, 0x3f737871, v42
	;; [unrolled: 1-line block ×4, first 2 shown]
	v_add_f32_e32 v36, v38, v70
	v_add_f32_e32 v36, v36, v72
	v_sub_f32_e32 v46, v71, v67
	v_sub_f32_e32 v54, v73, v52
	v_add_f32_e32 v36, v36, v74
	v_add_f32_e32 v46, v46, v54
	;; [unrolled: 1-line block ×4, first 2 shown]
	v_fmac_f32_e32 v53, 0x3e9e377a, v46
	v_fmac_f32_e32 v37, 0x3e9e377a, v46
	v_fma_f32 v46, -0.5, v36, v38
	v_sub_f32_e32 v36, v67, v52
	v_mov_b32_e32 v52, v46
	v_add_f32_e32 v33, v33, v61
	v_fmac_f32_e32 v52, 0xbf737871, v36
	v_sub_f32_e32 v60, v71, v73
	v_sub_f32_e32 v54, v70, v72
	;; [unrolled: 1-line block ×3, first 2 shown]
	v_fmac_f32_e32 v46, 0x3f737871, v36
	v_fmac_f32_e32 v52, 0xbf167918, v60
	v_add_f32_e32 v54, v54, v61
	v_fmac_f32_e32 v46, 0x3f167918, v60
	v_fmac_f32_e32 v52, 0x3e9e377a, v54
	;; [unrolled: 1-line block ×3, first 2 shown]
	v_add_f32_e32 v54, v70, v68
	v_fmac_f32_e32 v38, -0.5, v54
	v_mov_b32_e32 v54, v38
	v_add_f32_e32 v33, v33, v66
	v_fmac_f32_e32 v54, 0x3f737871, v60
	v_sub_f32_e32 v61, v72, v70
	v_sub_f32_e32 v66, v74, v68
	v_fmac_f32_e32 v38, 0xbf737871, v60
	v_fmac_f32_e32 v54, 0xbf167918, v36
	v_add_f32_e32 v61, v61, v66
	v_fmac_f32_e32 v38, 0x3f167918, v36
	v_fmac_f32_e32 v54, 0x3e9e377a, v61
	;; [unrolled: 1-line block ×3, first 2 shown]
	ds_write2_b64 v62, v[32:33], v[41:42] offset1:55
	ds_write2_b64 v62, v[34:35], v[51:52] offset0:110 offset1:165
	ds_write2_b64 v44, v[47:48], v[53:54] offset0:92 offset1:147
	;; [unrolled: 1-line block ×4, first 2 shown]
	s_waitcnt lgkmcnt(0)
	; wave barrier
	s_waitcnt lgkmcnt(0)
	s_and_saveexec_b64 s[2:3], s[0:1]
	s_cbranch_execz .LBB0_9
; %bb.8:
	v_add_co_u32_e32 v36, vcc, s8, v62
	v_mov_b32_e32 v60, s9
	v_addc_co_u32_e32 v67, vcc, 0, v60, vcc
	v_add_co_u32_e32 v70, vcc, 0x1130, v36
	v_addc_co_u32_e32 v71, vcc, 0, v67, vcc
	v_add_co_u32_e32 v66, vcc, 0x1000, v36
	v_addc_co_u32_e32 v67, vcc, 0, v67, vcc
	global_load_dwordx2 v[66:67], v[66:67], off offset:304
	ds_read_b64 v[60:61], v62
	s_waitcnt vmcnt(0) lgkmcnt(0)
	v_mul_f32_e32 v36, v61, v67
	v_mul_f32_e32 v69, v60, v67
	v_fma_f32 v68, v60, v66, -v36
	v_fmac_f32_e32 v69, v61, v66
	global_load_dwordx2 v[60:61], v[70:71], off offset:400
	ds_write_b64 v62, v[68:69]
	ds_read2_b64 v[66:69], v62 offset0:50 offset1:100
	s_waitcnt vmcnt(0) lgkmcnt(0)
	v_mul_f32_e32 v36, v67, v61
	v_mul_f32_e32 v73, v66, v61
	v_fma_f32 v72, v66, v60, -v36
	v_fmac_f32_e32 v73, v67, v60
	global_load_dwordx2 v[60:61], v[70:71], off offset:800
	s_waitcnt vmcnt(0)
	v_mul_f32_e32 v36, v69, v61
	v_mul_f32_e32 v67, v68, v61
	v_fma_f32 v66, v68, v60, -v36
	v_fmac_f32_e32 v67, v69, v60
	global_load_dwordx2 v[60:61], v[70:71], off offset:1200
	ds_write2_b64 v62, v[72:73], v[66:67] offset0:50 offset1:100
	ds_read2_b64 v[66:69], v62 offset0:150 offset1:200
	s_waitcnt vmcnt(0) lgkmcnt(0)
	v_mul_f32_e32 v36, v67, v61
	v_mul_f32_e32 v73, v66, v61
	v_fma_f32 v72, v66, v60, -v36
	v_fmac_f32_e32 v73, v67, v60
	global_load_dwordx2 v[60:61], v[70:71], off offset:1600
	s_waitcnt vmcnt(0)
	v_mul_f32_e32 v36, v69, v61
	v_mul_f32_e32 v67, v68, v61
	v_fma_f32 v66, v68, v60, -v36
	v_fmac_f32_e32 v67, v69, v60
	global_load_dwordx2 v[60:61], v[70:71], off offset:2000
	ds_write2_b64 v62, v[72:73], v[66:67] offset0:150 offset1:200
	;; [unrolled: 14-line block ×4, first 2 shown]
	ds_read2_b64 v[66:69], v43 offset0:194 offset1:244
	s_waitcnt vmcnt(0) lgkmcnt(0)
	v_mul_f32_e32 v36, v67, v61
	v_mul_f32_e32 v73, v66, v61
	v_fma_f32 v72, v66, v60, -v36
	v_fmac_f32_e32 v73, v67, v60
	global_load_dwordx2 v[60:61], v[70:71], off offset:4000
	s_waitcnt vmcnt(0)
	v_mul_f32_e32 v36, v69, v61
	v_mul_f32_e32 v67, v68, v61
	v_fma_f32 v66, v68, v60, -v36
	v_fmac_f32_e32 v67, v69, v60
	ds_write2_b64 v43, v[72:73], v[66:67] offset0:194 offset1:244
.LBB0_9:
	s_or_b64 exec, exec, s[2:3]
	s_waitcnt lgkmcnt(0)
	; wave barrier
	s_waitcnt lgkmcnt(0)
	s_and_saveexec_b64 s[2:3], s[0:1]
	s_cbranch_execz .LBB0_11
; %bb.10:
	ds_read2_b64 v[32:35], v62 offset1:50
	ds_read2_b64 v[47:50], v62 offset0:100 offset1:150
	ds_read2_b64 v[39:42], v62 offset0:200 offset1:250
	v_add_u32_e32 v36, 0x800, v62
	ds_read2_b64 v[43:46], v36 offset0:144 offset1:194
	ds_read2_b64 v[51:54], v36 offset0:44 offset1:94
	ds_read_b64 v[56:57], v62 offset:4000
	s_waitcnt lgkmcnt(2)
	v_mov_b32_e32 v37, v43
	v_mov_b32_e32 v38, v44
.LBB0_11:
	s_or_b64 exec, exec, s[2:3]
	s_waitcnt lgkmcnt(0)
	; wave barrier
	s_waitcnt lgkmcnt(0)
	s_and_saveexec_b64 s[2:3], s[0:1]
	s_cbranch_execz .LBB0_13
; %bb.12:
	v_add_f32_e32 v75, v57, v35
	v_mul_f32_e32 v76, 0xbf75a155, v75
	v_add_f32_e32 v77, v46, v48
	v_sub_f32_e32 v36, v34, v56
	v_mov_b32_e32 v43, v76
	v_mul_f32_e32 v78, 0x3f575c64, v77
	v_fmac_f32_e32 v43, 0x3e903f40, v36
	v_sub_f32_e32 v66, v47, v45
	v_mov_b32_e32 v44, v78
	v_add_f32_e32 v79, v38, v50
	v_add_f32_e32 v43, v33, v43
	v_fmac_f32_e32 v44, 0xbf0a6770, v66
	v_mul_f32_e32 v80, 0xbf27a4f4, v79
	v_add_f32_e32 v43, v44, v43
	v_sub_f32_e32 v67, v49, v37
	v_mov_b32_e32 v44, v80
	v_add_f32_e32 v81, v54, v40
	v_fmac_f32_e32 v44, 0x3f4178ce, v67
	v_mul_f32_e32 v82, 0x3ed4b147, v81
	v_add_f32_e32 v43, v44, v43
	v_sub_f32_e32 v68, v39, v53
	v_mov_b32_e32 v44, v82
	;; [unrolled: 6-line block ×3, first 2 shown]
	v_sub_f32_e32 v85, v35, v57
	v_fmac_f32_e32 v44, 0x3f7d64f0, v69
	v_mul_f32_e32 v86, 0xbe903f40, v85
	v_sub_f32_e32 v87, v48, v46
	v_add_f32_e32 v44, v44, v43
	v_add_f32_e32 v70, v56, v34
	v_mov_b32_e32 v43, v86
	v_mul_f32_e32 v88, 0x3f0a6770, v87
	v_fmac_f32_e32 v43, 0xbf75a155, v70
	v_add_f32_e32 v71, v45, v47
	v_mov_b32_e32 v60, v88
	v_sub_f32_e32 v89, v50, v38
	v_add_f32_e32 v43, v32, v43
	v_fmac_f32_e32 v60, 0x3f575c64, v71
	v_mul_f32_e32 v90, 0xbf4178ce, v89
	v_add_f32_e32 v43, v60, v43
	v_add_f32_e32 v72, v37, v49
	v_mov_b32_e32 v60, v90
	v_sub_f32_e32 v91, v40, v54
	v_fmac_f32_e32 v60, 0xbf27a4f4, v72
	v_mul_f32_e32 v92, 0x3f68dda4, v91
	v_add_f32_e32 v43, v60, v43
	v_add_f32_e32 v73, v53, v39
	v_mov_b32_e32 v60, v92
	v_sub_f32_e32 v93, v42, v52
	v_fmac_f32_e32 v60, 0x3ed4b147, v73
	v_mul_f32_e32 v94, 0xbf7d64f0, v93
	v_add_f32_e32 v43, v60, v43
	v_add_f32_e32 v74, v51, v41
	v_mov_b32_e32 v60, v94
	v_fmac_f32_e32 v60, 0xbe11bafb, v74
	v_mul_f32_e32 v95, 0xbf27a4f4, v75
	v_add_f32_e32 v43, v60, v43
	v_mov_b32_e32 v60, v95
	v_mul_f32_e32 v96, 0xbe11bafb, v77
	v_fmac_f32_e32 v60, 0x3f4178ce, v36
	v_mov_b32_e32 v61, v96
	v_add_f32_e32 v60, v33, v60
	v_fmac_f32_e32 v61, 0xbf7d64f0, v66
	v_mul_f32_e32 v97, 0x3f575c64, v79
	v_add_f32_e32 v60, v61, v60
	v_mov_b32_e32 v61, v97
	v_fmac_f32_e32 v61, 0x3f0a6770, v67
	v_mul_f32_e32 v98, 0xbf75a155, v81
	v_add_f32_e32 v60, v61, v60
	v_mov_b32_e32 v61, v98
	;; [unrolled: 4-line block ×4, first 2 shown]
	v_mul_f32_e32 v101, 0x3f7d64f0, v87
	v_fmac_f32_e32 v60, 0xbf27a4f4, v70
	v_mov_b32_e32 v102, v101
	v_add_f32_e32 v60, v32, v60
	v_fmac_f32_e32 v102, 0xbe11bafb, v71
	v_add_f32_e32 v60, v102, v60
	v_mul_f32_e32 v102, 0xbf0a6770, v89
	v_mov_b32_e32 v103, v102
	v_add_f32_e32 v34, v34, v32
	v_fmac_f32_e32 v103, 0x3f575c64, v72
	v_add_f32_e32 v35, v35, v33
	v_add_f32_e32 v34, v47, v34
	;; [unrolled: 1-line block ×3, first 2 shown]
	v_mul_f32_e32 v103, 0xbe903f40, v91
	v_add_f32_e32 v35, v48, v35
	v_add_f32_e32 v34, v49, v34
	v_mov_b32_e32 v104, v103
	v_add_f32_e32 v35, v50, v35
	v_add_f32_e32 v34, v39, v34
	v_fmac_f32_e32 v104, 0xbf75a155, v73
	v_add_f32_e32 v35, v40, v35
	v_add_f32_e32 v34, v41, v34
	v_mul_f32_e32 v108, 0xbf7d64f0, v85
	v_add_f32_e32 v60, v104, v60
	v_mul_f32_e32 v104, 0x3f68dda4, v93
	v_mul_f32_e32 v49, 0xbe11bafb, v75
	v_add_f32_e32 v35, v42, v35
	v_mov_b32_e32 v40, v108
	v_add_f32_e32 v34, v51, v34
	v_mul_f32_e32 v51, 0x3e903f40, v87
	v_mov_b32_e32 v105, v104
	v_mov_b32_e32 v47, v49
	v_mul_f32_e32 v50, 0xbf75a155, v77
	v_fmac_f32_e32 v40, 0xbe11bafb, v70
	v_add_f32_e32 v35, v52, v35
	v_add_f32_e32 v42, v53, v34
	v_mov_b32_e32 v34, v51
	v_mul_f32_e32 v52, 0x3f68dda4, v89
	v_fmac_f32_e32 v105, 0x3ed4b147, v74
	v_fmac_f32_e32 v47, 0x3f7d64f0, v36
	v_mov_b32_e32 v48, v50
	v_add_f32_e32 v40, v32, v40
	v_add_f32_e32 v41, v54, v35
	v_fmac_f32_e32 v34, 0xbf75a155, v71
	v_mov_b32_e32 v35, v52
	v_add_f32_e32 v60, v105, v60
	v_add_f32_e32 v47, v33, v47
	v_fmac_f32_e32 v48, 0xbe903f40, v66
	v_mul_f32_e32 v105, 0x3ed4b147, v79
	v_add_f32_e32 v34, v34, v40
	v_fmac_f32_e32 v35, 0x3ed4b147, v72
	v_mul_f32_e32 v53, 0xbf0a6770, v91
	v_add_f32_e32 v47, v48, v47
	v_mov_b32_e32 v48, v105
	v_mul_f32_e32 v106, 0x3f575c64, v81
	v_add_f32_e32 v34, v35, v34
	v_mov_b32_e32 v35, v53
	v_fmac_f32_e32 v48, 0xbf68dda4, v67
	v_mov_b32_e32 v39, v106
	v_mul_f32_e32 v107, 0xbf27a4f4, v83
	v_fmac_f32_e32 v35, 0x3f575c64, v73
	v_add_f32_e32 v47, v48, v47
	v_fmac_f32_e32 v39, 0x3f0a6770, v68
	v_add_f32_e32 v34, v35, v34
	v_mov_b32_e32 v35, v107
	v_add_f32_e32 v39, v39, v47
	v_fmac_f32_e32 v35, 0x3f4178ce, v69
	v_mul_f32_e32 v54, 0xbf4178ce, v93
	v_add_f32_e32 v35, v35, v39
	v_mov_b32_e32 v39, v54
	v_fmac_f32_e32 v39, 0xbf27a4f4, v74
	v_mul_f32_e32 v109, 0x3ed4b147, v75
	v_add_f32_e32 v34, v39, v34
	v_mov_b32_e32 v39, v109
	v_mul_f32_e32 v110, 0xbf27a4f4, v77
	v_fmac_f32_e32 v39, 0x3f68dda4, v36
	v_mov_b32_e32 v40, v110
	v_add_f32_e32 v39, v33, v39
	v_fmac_f32_e32 v40, 0x3f4178ce, v66
	v_mul_f32_e32 v111, 0xbf75a155, v79
	v_add_f32_e32 v39, v40, v39
	v_mov_b32_e32 v40, v111
	v_fmac_f32_e32 v40, 0xbe903f40, v67
	v_mul_f32_e32 v112, 0xbe11bafb, v81
	v_add_f32_e32 v37, v37, v42
	v_add_f32_e32 v39, v40, v39
	v_mov_b32_e32 v40, v112
	v_add_f32_e32 v37, v45, v37
	v_fmac_f32_e32 v40, 0xbf7d64f0, v68
	v_mul_f32_e32 v113, 0xbf68dda4, v85
	v_add_f32_e32 v38, v38, v41
	v_add_f32_e32 v39, v40, v39
	v_mov_b32_e32 v40, v113
	v_add_f32_e32 v37, v56, v37
	v_mul_f32_e32 v56, 0xbf4178ce, v87
	v_add_f32_e32 v38, v46, v38
	v_fmac_f32_e32 v40, 0x3ed4b147, v70
	v_mov_b32_e32 v41, v56
	v_add_f32_e32 v40, v32, v40
	v_add_f32_e32 v38, v57, v38
	v_fmac_f32_e32 v41, 0xbf27a4f4, v71
	v_mul_f32_e32 v57, 0x3e903f40, v89
	v_add_f32_e32 v40, v41, v40
	v_mov_b32_e32 v41, v57
	v_fmac_f32_e32 v41, 0xbf75a155, v72
	v_mul_f32_e32 v114, 0x3f7d64f0, v91
	v_add_f32_e32 v40, v41, v40
	v_mov_b32_e32 v41, v114
	;; [unrolled: 4-line block ×5, first 2 shown]
	v_mul_f32_e32 v77, 0x3ed4b147, v77
	v_fmac_f32_e32 v41, 0x3f0a6770, v36
	v_mov_b32_e32 v42, v77
	v_add_f32_e32 v41, v33, v41
	v_fmac_f32_e32 v42, 0x3f68dda4, v66
	v_mul_f32_e32 v79, 0xbe11bafb, v79
	v_add_f32_e32 v41, v42, v41
	v_mov_b32_e32 v42, v79
	v_fmac_f32_e32 v42, 0x3f7d64f0, v67
	v_mul_f32_e32 v81, 0xbf27a4f4, v81
	v_add_f32_e32 v41, v42, v41
	v_mov_b32_e32 v42, v81
	;; [unrolled: 4-line block ×3, first 2 shown]
	v_mul_f32_e32 v87, 0xbf68dda4, v87
	v_fmac_f32_e32 v42, 0x3f575c64, v70
	v_mov_b32_e32 v45, v87
	v_add_f32_e32 v42, v32, v42
	v_fmac_f32_e32 v45, 0x3ed4b147, v71
	v_mul_f32_e32 v89, 0xbf7d64f0, v89
	v_add_f32_e32 v42, v45, v42
	v_mov_b32_e32 v45, v89
	v_fmac_f32_e32 v45, 0xbe11bafb, v72
	v_mul_f32_e32 v91, 0xbf4178ce, v91
	v_add_f32_e32 v42, v45, v42
	v_mov_b32_e32 v45, v91
	;; [unrolled: 4-line block ×3, first 2 shown]
	v_fmac_f32_e32 v42, 0x3e903f40, v69
	v_mul_f32_e32 v93, 0xbe903f40, v93
	v_fmac_f32_e32 v49, 0xbf7d64f0, v36
	v_add_f32_e32 v42, v42, v41
	v_mov_b32_e32 v41, v93
	v_add_f32_e32 v49, v33, v49
	v_fmac_f32_e32 v50, 0x3e903f40, v66
	v_fmac_f32_e32 v41, 0xbf75a155, v74
	;; [unrolled: 1-line block ×3, first 2 shown]
	v_add_f32_e32 v49, v50, v49
	v_fmac_f32_e32 v105, 0x3f68dda4, v67
	v_add_f32_e32 v41, v41, v45
	v_add_f32_e32 v45, v33, v76
	v_fmac_f32_e32 v78, 0x3f0a6770, v66
	v_add_f32_e32 v49, v105, v49
	v_fmac_f32_e32 v106, 0xbf0a6770, v68
	v_add_f32_e32 v45, v78, v45
	v_fmac_f32_e32 v80, 0xbf4178ce, v67
	s_mov_b32 s12, 0xbf75a155
	s_mov_b32 s16, 0xbe11bafb
	v_add_f32_e32 v49, v106, v49
	v_fmac_f32_e32 v107, 0xbf4178ce, v69
	v_add_f32_e32 v45, v80, v45
	v_fmac_f32_e32 v82, 0x3f68dda4, v68
	s_mov_b32 s13, 0x3f575c64
	v_fma_f32 v46, v70, s12, -v86
	v_add_f32_e32 v50, v107, v49
	v_fma_f32 v49, v70, s16, -v108
	v_add_f32_e32 v45, v82, v45
	v_add_f32_e32 v46, v32, v46
	v_fma_f32 v47, v71, s13, -v88
	s_mov_b32 s14, 0xbf27a4f4
	s_mov_b32 s15, 0x3ed4b147
	v_fmac_f32_e32 v84, 0xbf7d64f0, v69
	v_add_f32_e32 v49, v32, v49
	v_fma_f32 v51, v71, s12, -v51
	v_add_f32_e32 v47, v47, v46
	v_add_f32_e32 v46, v84, v45
	v_fma_f32 v45, v72, s14, -v90
	v_add_f32_e32 v49, v51, v49
	v_fma_f32 v51, v72, s15, -v52
	;; [unrolled: 2-line block ×5, first 2 shown]
	v_fmac_f32_e32 v95, 0xbf4178ce, v36
	v_add_f32_e32 v49, v51, v49
	v_fma_f32 v51, v74, s14, -v54
	v_fmac_f32_e32 v109, 0xbf68dda4, v36
	v_add_f32_e32 v45, v47, v45
	v_add_f32_e32 v47, v33, v95
	v_fmac_f32_e32 v96, 0x3f7d64f0, v66
	v_add_f32_e32 v49, v51, v49
	v_add_f32_e32 v51, v33, v109
	v_fmac_f32_e32 v110, 0xbf4178ce, v66
	v_add_f32_e32 v47, v96, v47
	v_fmac_f32_e32 v97, 0xbf0a6770, v67
	;; [unrolled: 2-line block ×7, first 2 shown]
	v_add_f32_e32 v48, v99, v47
	v_fma_f32 v47, v70, s14, -v100
	v_add_f32_e32 v52, v115, v51
	v_fma_f32 v51, v70, s15, -v113
	v_fmac_f32_e32 v75, 0xbf0a6770, v36
	v_fma_f32 v36, v70, s13, -v85
	v_add_f32_e32 v47, v32, v47
	v_add_f32_e32 v51, v32, v51
	;; [unrolled: 1-line block ×3, first 2 shown]
	v_fma_f32 v36, v71, s15, -v87
	v_fma_f32 v76, v71, s16, -v101
	;; [unrolled: 1-line block ×3, first 2 shown]
	v_add_f32_e32 v33, v33, v75
	v_fmac_f32_e32 v77, 0xbf68dda4, v66
	v_add_f32_e32 v32, v36, v32
	v_fma_f32 v36, v72, s16, -v89
	v_add_f32_e32 v47, v76, v47
	v_fma_f32 v76, v72, s13, -v102
	v_add_f32_e32 v51, v53, v51
	v_fma_f32 v53, v72, s12, -v57
	v_add_f32_e32 v33, v77, v33
	v_fmac_f32_e32 v79, 0xbf7d64f0, v67
	v_add_f32_e32 v32, v36, v32
	v_fma_f32 v36, v73, s14, -v91
	v_add_f32_e32 v47, v76, v47
	v_fma_f32 v76, v73, s12, -v103
	v_add_f32_e32 v51, v53, v51
	v_fma_f32 v53, v73, s16, -v114
	;; [unrolled: 8-line block ×3, first 2 shown]
	v_add_f32_e32 v33, v81, v33
	v_fmac_f32_e32 v83, 0xbe903f40, v69
	v_add_f32_e32 v32, v36, v32
	v_lshlrev_b32_e32 v36, 3, v64
	v_add_f32_e32 v47, v76, v47
	v_add_f32_e32 v51, v53, v51
	;; [unrolled: 1-line block ×3, first 2 shown]
	ds_write2_b64 v36, v[37:38], v[41:42] offset1:1
	ds_write2_b64 v36, v[39:40], v[34:35] offset0:2 offset1:3
	ds_write2_b64 v36, v[60:61], v[43:44] offset0:4 offset1:5
	;; [unrolled: 1-line block ×4, first 2 shown]
	ds_write_b64 v36, v[32:33] offset:80
.LBB0_13:
	s_or_b64 exec, exec, s[2:3]
	s_waitcnt lgkmcnt(0)
	; wave barrier
	s_waitcnt lgkmcnt(0)
	ds_read2_b64 v[34:37], v62 offset1:55
	ds_read2_b64 v[38:41], v62 offset0:110 offset1:165
	v_add_u32_e32 v33, 0x400, v62
	ds_read2_b64 v[42:45], v33 offset0:92 offset1:147
	v_add_u32_e32 v32, 0x800, v62
	s_waitcnt lgkmcnt(2)
	v_mul_f32_e32 v54, v13, v37
	v_mul_f32_e32 v13, v13, v36
	ds_read2_b64 v[46:49], v32 offset0:74 offset1:129
	ds_read2_b64 v[50:53], v32 offset0:184 offset1:239
	v_fmac_f32_e32 v54, v12, v36
	v_fma_f32 v12, v12, v37, -v13
	s_waitcnt lgkmcnt(3)
	v_mul_f32_e32 v13, v15, v39
	v_mul_f32_e32 v15, v15, v38
	v_fmac_f32_e32 v13, v14, v38
	v_fma_f32 v14, v14, v39, -v15
	v_mul_f32_e32 v15, v9, v41
	v_mul_f32_e32 v9, v9, v40
	v_fmac_f32_e32 v15, v8, v40
	v_fma_f32 v8, v8, v41, -v9
	s_waitcnt lgkmcnt(2)
	v_mul_f32_e32 v9, v11, v43
	v_mul_f32_e32 v11, v11, v42
	v_fmac_f32_e32 v9, v10, v42
	v_fma_f32 v10, v10, v43, -v11
	v_mul_f32_e32 v11, v5, v45
	v_mul_f32_e32 v5, v5, v44
	;; [unrolled: 9-line block ×3, first 2 shown]
	v_fmac_f32_e32 v7, v0, v48
	v_fma_f32 v0, v0, v49, -v1
	s_waitcnt lgkmcnt(0)
	v_mul_f32_e32 v1, v3, v51
	v_mul_f32_e32 v3, v3, v50
	v_add_f32_e32 v38, v9, v5
	v_fmac_f32_e32 v1, v2, v50
	v_fma_f32 v2, v2, v51, -v3
	v_fma_f32 v38, -0.5, v38, v34
	v_sub_f32_e32 v39, v14, v2
	v_mov_b32_e32 v40, v38
	v_fmac_f32_e32 v40, 0xbf737871, v39
	v_sub_f32_e32 v41, v10, v6
	v_sub_f32_e32 v42, v13, v9
	;; [unrolled: 1-line block ×3, first 2 shown]
	v_fmac_f32_e32 v38, 0x3f737871, v39
	v_fmac_f32_e32 v40, 0xbf167918, v41
	v_add_f32_e32 v42, v42, v43
	v_fmac_f32_e32 v38, 0x3f167918, v41
	v_fmac_f32_e32 v40, 0x3e9e377a, v42
	;; [unrolled: 1-line block ×3, first 2 shown]
	v_add_f32_e32 v42, v13, v1
	v_add_f32_e32 v37, v34, v13
	v_fma_f32 v34, -0.5, v42, v34
	v_mov_b32_e32 v42, v34
	v_add_f32_e32 v37, v37, v9
	v_fmac_f32_e32 v42, 0x3f737871, v41
	v_fmac_f32_e32 v34, 0xbf737871, v41
	v_add_f32_e32 v41, v10, v6
	v_add_f32_e32 v37, v37, v5
	v_sub_f32_e32 v43, v9, v13
	v_sub_f32_e32 v44, v5, v1
	v_fma_f32 v41, -0.5, v41, v35
	v_add_f32_e32 v37, v37, v1
	v_fmac_f32_e32 v42, 0xbf167918, v39
	v_add_f32_e32 v43, v43, v44
	v_fmac_f32_e32 v34, 0x3f167918, v39
	v_sub_f32_e32 v1, v13, v1
	v_mov_b32_e32 v13, v41
	v_fmac_f32_e32 v42, 0x3e9e377a, v43
	v_fmac_f32_e32 v34, 0x3e9e377a, v43
	;; [unrolled: 1-line block ×3, first 2 shown]
	v_sub_f32_e32 v5, v9, v5
	v_sub_f32_e32 v9, v14, v10
	;; [unrolled: 1-line block ×3, first 2 shown]
	v_fmac_f32_e32 v41, 0xbf737871, v1
	v_fmac_f32_e32 v13, 0x3f167918, v5
	v_add_f32_e32 v9, v9, v43
	v_fmac_f32_e32 v41, 0xbf167918, v5
	v_fmac_f32_e32 v13, 0x3e9e377a, v9
	;; [unrolled: 1-line block ×3, first 2 shown]
	v_add_f32_e32 v9, v14, v2
	v_add_f32_e32 v39, v35, v14
	v_fma_f32 v35, -0.5, v9, v35
	v_mov_b32_e32 v43, v35
	v_fmac_f32_e32 v43, 0xbf737871, v5
	v_fmac_f32_e32 v35, 0x3f737871, v5
	;; [unrolled: 1-line block ×4, first 2 shown]
	v_add_f32_e32 v1, v54, v15
	v_mul_f32_e32 v3, v59, v53
	v_add_f32_e32 v39, v39, v10
	v_add_f32_e32 v1, v1, v11
	v_fmac_f32_e32 v3, v58, v52
	v_add_f32_e32 v39, v39, v6
	v_add_f32_e32 v1, v1, v7
	v_mul_f32_e32 v36, v59, v52
	v_add_f32_e32 v39, v39, v2
	v_sub_f32_e32 v9, v10, v14
	v_sub_f32_e32 v2, v6, v2
	v_add_f32_e32 v10, v1, v3
	v_add_f32_e32 v1, v11, v7
	v_fma_f32 v36, v58, v53, -v36
	v_add_f32_e32 v2, v9, v2
	v_fma_f32 v9, -0.5, v1, v54
	v_sub_f32_e32 v1, v8, v36
	v_mov_b32_e32 v5, v9
	v_fmac_f32_e32 v43, 0x3e9e377a, v2
	v_fmac_f32_e32 v35, 0x3e9e377a, v2
	;; [unrolled: 1-line block ×3, first 2 shown]
	v_sub_f32_e32 v2, v4, v0
	v_sub_f32_e32 v6, v15, v11
	;; [unrolled: 1-line block ×3, first 2 shown]
	v_fmac_f32_e32 v9, 0x3f737871, v1
	v_fmac_f32_e32 v5, 0xbf167918, v2
	v_add_f32_e32 v6, v6, v14
	v_fmac_f32_e32 v9, 0x3f167918, v2
	v_fmac_f32_e32 v5, 0x3e9e377a, v6
	;; [unrolled: 1-line block ×3, first 2 shown]
	v_add_f32_e32 v6, v15, v3
	v_fmac_f32_e32 v54, -0.5, v6
	v_mov_b32_e32 v14, v54
	v_fmac_f32_e32 v14, 0x3f737871, v2
	v_fmac_f32_e32 v54, 0xbf737871, v2
	;; [unrolled: 1-line block ×4, first 2 shown]
	v_add_f32_e32 v1, v12, v8
	v_add_f32_e32 v1, v1, v4
	v_sub_f32_e32 v6, v11, v15
	v_sub_f32_e32 v44, v7, v3
	v_add_f32_e32 v1, v1, v0
	v_add_f32_e32 v6, v6, v44
	;; [unrolled: 1-line block ×4, first 2 shown]
	v_fma_f32 v45, -0.5, v1, v12
	v_sub_f32_e32 v1, v15, v3
	v_mov_b32_e32 v3, v45
	v_fmac_f32_e32 v14, 0x3e9e377a, v6
	v_fmac_f32_e32 v54, 0x3e9e377a, v6
	v_fmac_f32_e32 v3, 0x3f737871, v1
	v_sub_f32_e32 v2, v11, v7
	v_sub_f32_e32 v6, v8, v4
	;; [unrolled: 1-line block ×3, first 2 shown]
	v_fmac_f32_e32 v45, 0xbf737871, v1
	v_fmac_f32_e32 v3, 0x3f167918, v2
	v_add_f32_e32 v6, v6, v7
	v_fmac_f32_e32 v45, 0xbf167918, v2
	v_fmac_f32_e32 v3, 0x3e9e377a, v6
	;; [unrolled: 1-line block ×3, first 2 shown]
	v_add_f32_e32 v6, v8, v36
	v_fmac_f32_e32 v12, -0.5, v6
	v_mov_b32_e32 v7, v12
	v_fmac_f32_e32 v7, 0xbf737871, v2
	v_sub_f32_e32 v4, v4, v8
	v_sub_f32_e32 v0, v0, v36
	v_fmac_f32_e32 v12, 0x3f737871, v2
	v_fmac_f32_e32 v7, 0x3f167918, v1
	v_add_f32_e32 v0, v4, v0
	v_fmac_f32_e32 v12, 0xbf167918, v1
	v_fmac_f32_e32 v7, 0x3e9e377a, v0
	;; [unrolled: 1-line block ×3, first 2 shown]
	v_mul_f32_e32 v11, 0xbf167918, v3
	v_mul_f32_e32 v15, 0xbf737871, v7
	;; [unrolled: 1-line block ×8, first 2 shown]
	v_fmac_f32_e32 v11, 0x3f4f1bbd, v5
	v_fmac_f32_e32 v15, 0x3e9e377a, v14
	;; [unrolled: 1-line block ×8, first 2 shown]
	v_add_f32_e32 v0, v37, v10
	v_add_f32_e32 v2, v40, v11
	;; [unrolled: 1-line block ×10, first 2 shown]
	v_sub_f32_e32 v10, v37, v10
	v_sub_f32_e32 v12, v40, v11
	;; [unrolled: 1-line block ×10, first 2 shown]
	s_waitcnt lgkmcnt(0)
	; wave barrier
	ds_write2_b64 v65, v[0:1], v[2:3] offset1:11
	ds_write2_b64 v65, v[4:5], v[6:7] offset0:22 offset1:33
	ds_write2_b64 v65, v[8:9], v[10:11] offset0:44 offset1:55
	;; [unrolled: 1-line block ×4, first 2 shown]
	s_waitcnt lgkmcnt(0)
	; wave barrier
	s_waitcnt lgkmcnt(0)
	ds_read2_b64 v[0:3], v62 offset0:110 offset1:165
	ds_read2_b64 v[4:7], v62 offset1:55
	ds_read2_b64 v[8:11], v33 offset0:92 offset1:147
	ds_read2_b64 v[12:15], v32 offset0:74 offset1:129
	;; [unrolled: 1-line block ×3, first 2 shown]
	s_waitcnt lgkmcnt(4)
	v_mul_f32_e32 v38, v25, v1
	v_fmac_f32_e32 v38, v24, v0
	v_mul_f32_e32 v0, v25, v0
	v_fma_f32 v24, v24, v1, -v0
	s_waitcnt lgkmcnt(2)
	v_mul_f32_e32 v25, v27, v9
	v_mul_f32_e32 v0, v27, v8
	s_waitcnt lgkmcnt(1)
	v_mul_f32_e32 v27, v17, v13
	v_fmac_f32_e32 v25, v26, v8
	v_fma_f32 v26, v26, v9, -v0
	v_fmac_f32_e32 v27, v16, v12
	v_mul_f32_e32 v0, v17, v12
	v_fma_f32 v12, v16, v13, -v0
	s_waitcnt lgkmcnt(0)
	v_mul_f32_e32 v0, v19, v34
	v_mul_f32_e32 v17, v29, v3
	v_add_f32_e32 v1, v25, v27
	v_mul_f32_e32 v9, v19, v35
	v_fma_f32 v13, v18, v35, -v0
	v_fmac_f32_e32 v17, v28, v2
	v_mul_f32_e32 v0, v29, v2
	v_fma_f32 v2, -0.5, v1, v4
	v_fmac_f32_e32 v9, v18, v34
	v_fma_f32 v28, v28, v3, -v0
	v_mul_f32_e32 v19, v31, v11
	v_mul_f32_e32 v0, v31, v10
	v_sub_f32_e32 v1, v24, v13
	v_mov_b32_e32 v8, v2
	v_fmac_f32_e32 v19, v30, v10
	v_fma_f32 v29, v30, v11, -v0
	v_fmac_f32_e32 v8, 0xbf737871, v1
	v_sub_f32_e32 v3, v26, v12
	v_sub_f32_e32 v10, v38, v25
	;; [unrolled: 1-line block ×3, first 2 shown]
	v_fmac_f32_e32 v2, 0x3f737871, v1
	v_mul_f32_e32 v30, v21, v15
	v_mul_f32_e32 v0, v21, v14
	v_fmac_f32_e32 v8, 0xbf167918, v3
	v_add_f32_e32 v10, v10, v11
	v_fmac_f32_e32 v2, 0x3f167918, v3
	v_fmac_f32_e32 v30, v20, v14
	v_fma_f32 v20, v20, v15, -v0
	v_mul_f32_e32 v21, v23, v37
	v_mul_f32_e32 v0, v23, v36
	v_fmac_f32_e32 v8, 0x3e9e377a, v10
	v_fmac_f32_e32 v2, 0x3e9e377a, v10
	v_add_f32_e32 v10, v38, v9
	v_fmac_f32_e32 v21, v22, v36
	v_fma_f32 v22, v22, v37, -v0
	v_add_f32_e32 v0, v4, v38
	v_fma_f32 v4, -0.5, v10, v4
	v_mov_b32_e32 v10, v4
	v_add_f32_e32 v0, v0, v25
	v_fmac_f32_e32 v10, 0x3f737871, v3
	v_fmac_f32_e32 v4, 0xbf737871, v3
	v_add_f32_e32 v3, v26, v12
	v_add_f32_e32 v0, v0, v27
	v_sub_f32_e32 v11, v25, v38
	v_sub_f32_e32 v14, v27, v9
	v_fma_f32 v3, -0.5, v3, v5
	v_add_f32_e32 v0, v0, v9
	v_fmac_f32_e32 v10, 0xbf167918, v1
	v_add_f32_e32 v11, v11, v14
	v_fmac_f32_e32 v4, 0x3f167918, v1
	v_sub_f32_e32 v14, v38, v9
	v_mov_b32_e32 v9, v3
	v_fmac_f32_e32 v10, 0x3e9e377a, v11
	v_fmac_f32_e32 v4, 0x3e9e377a, v11
	;; [unrolled: 1-line block ×3, first 2 shown]
	v_sub_f32_e32 v15, v25, v27
	v_sub_f32_e32 v11, v24, v26
	;; [unrolled: 1-line block ×3, first 2 shown]
	v_fmac_f32_e32 v3, 0xbf737871, v14
	v_fmac_f32_e32 v9, 0x3f167918, v15
	v_add_f32_e32 v11, v11, v16
	v_fmac_f32_e32 v3, 0xbf167918, v15
	v_add_f32_e32 v1, v5, v24
	v_fmac_f32_e32 v9, 0x3e9e377a, v11
	v_fmac_f32_e32 v3, 0x3e9e377a, v11
	v_add_f32_e32 v11, v24, v13
	v_add_f32_e32 v1, v1, v26
	v_fma_f32 v5, -0.5, v11, v5
	v_add_f32_e32 v1, v1, v12
	v_mov_b32_e32 v11, v5
	v_add_f32_e32 v1, v1, v13
	v_fmac_f32_e32 v11, 0xbf737871, v15
	v_sub_f32_e32 v12, v12, v13
	v_fmac_f32_e32 v5, 0x3f737871, v15
	v_add_f32_e32 v13, v19, v30
	v_fmac_f32_e32 v11, 0x3f167918, v14
	v_sub_f32_e32 v16, v26, v24
	v_fmac_f32_e32 v5, 0xbf167918, v14
	v_fma_f32 v14, -0.5, v13, v6
	v_add_f32_e32 v12, v16, v12
	v_sub_f32_e32 v13, v28, v22
	v_mov_b32_e32 v16, v14
	v_fmac_f32_e32 v16, 0xbf737871, v13
	v_sub_f32_e32 v15, v29, v20
	v_sub_f32_e32 v18, v17, v19
	;; [unrolled: 1-line block ×3, first 2 shown]
	v_fmac_f32_e32 v14, 0x3f737871, v13
	v_fmac_f32_e32 v16, 0xbf167918, v15
	v_add_f32_e32 v18, v18, v23
	v_fmac_f32_e32 v14, 0x3f167918, v15
	v_fmac_f32_e32 v16, 0x3e9e377a, v18
	;; [unrolled: 1-line block ×3, first 2 shown]
	v_add_f32_e32 v18, v17, v21
	v_fmac_f32_e32 v11, 0x3e9e377a, v12
	v_fmac_f32_e32 v5, 0x3e9e377a, v12
	v_add_f32_e32 v12, v6, v17
	v_fma_f32 v6, -0.5, v18, v6
	v_mov_b32_e32 v18, v6
	v_add_f32_e32 v12, v12, v19
	v_fmac_f32_e32 v18, 0x3f737871, v15
	v_fmac_f32_e32 v6, 0xbf737871, v15
	v_add_f32_e32 v15, v29, v20
	v_add_f32_e32 v12, v12, v30
	v_sub_f32_e32 v23, v19, v17
	v_sub_f32_e32 v24, v30, v21
	v_fma_f32 v15, -0.5, v15, v7
	v_add_f32_e32 v12, v12, v21
	v_fmac_f32_e32 v18, 0xbf167918, v13
	v_add_f32_e32 v23, v23, v24
	v_fmac_f32_e32 v6, 0x3f167918, v13
	v_sub_f32_e32 v21, v17, v21
	v_mov_b32_e32 v17, v15
	v_fmac_f32_e32 v18, 0x3e9e377a, v23
	v_fmac_f32_e32 v6, 0x3e9e377a, v23
	;; [unrolled: 1-line block ×3, first 2 shown]
	v_sub_f32_e32 v23, v19, v30
	v_sub_f32_e32 v19, v28, v29
	;; [unrolled: 1-line block ×3, first 2 shown]
	v_fmac_f32_e32 v15, 0xbf737871, v21
	v_fmac_f32_e32 v17, 0x3f167918, v23
	v_add_f32_e32 v19, v19, v24
	v_fmac_f32_e32 v15, 0xbf167918, v23
	v_fmac_f32_e32 v17, 0x3e9e377a, v19
	;; [unrolled: 1-line block ×3, first 2 shown]
	v_add_f32_e32 v19, v28, v22
	v_add_f32_e32 v13, v7, v28
	v_fmac_f32_e32 v7, -0.5, v19
	v_add_f32_e32 v13, v13, v29
	v_mov_b32_e32 v19, v7
	v_add_f32_e32 v13, v13, v20
	v_fmac_f32_e32 v19, 0xbf737871, v23
	v_sub_f32_e32 v24, v29, v28
	v_sub_f32_e32 v20, v20, v22
	v_fmac_f32_e32 v7, 0x3f737871, v23
	v_add_f32_e32 v13, v13, v22
	v_fmac_f32_e32 v19, 0x3f167918, v21
	v_add_f32_e32 v20, v24, v20
	v_fmac_f32_e32 v7, 0xbf167918, v21
	v_fmac_f32_e32 v19, 0x3e9e377a, v20
	;; [unrolled: 1-line block ×3, first 2 shown]
	ds_write2_b64 v62, v[0:1], v[12:13] offset1:55
	ds_write2_b64 v62, v[8:9], v[16:17] offset0:110 offset1:165
	ds_write2_b64 v33, v[10:11], v[18:19] offset0:92 offset1:147
	;; [unrolled: 1-line block ×4, first 2 shown]
	s_waitcnt lgkmcnt(0)
	; wave barrier
	s_waitcnt lgkmcnt(0)
	s_and_b64 exec, exec, s[0:1]
	s_cbranch_execz .LBB0_15
; %bb.14:
	global_load_dwordx2 v[8:9], v62, s[8:9]
	global_load_dwordx2 v[10:11], v62, s[8:9] offset:400
	global_load_dwordx2 v[12:13], v62, s[8:9] offset:800
	;; [unrolled: 1-line block ×4, first 2 shown]
	ds_read_b64 v[18:19], v62
	ds_read2_b64 v[0:3], v62 offset0:50 offset1:100
	ds_read2_b64 v[4:7], v62 offset0:150 offset1:200
	global_load_dwordx2 v[24:25], v62, s[8:9] offset:2000
	global_load_dwordx2 v[26:27], v62, s[8:9] offset:2400
	v_mad_u64_u32 v[20:21], s[0:1], s6, v55, 0
	v_mad_u64_u32 v[22:23], s[2:3], s4, v63, 0
	s_mul_i32 s3, s5, 0x190
	s_mul_hi_u32 s6, s4, 0x190
	s_add_i32 s3, s6, s3
	v_mad_u64_u32 v[28:29], s[6:7], s7, v55, v[21:22]
	s_mul_i32 s2, s4, 0x190
	v_mov_b32_e32 v31, s11
	v_mov_b32_e32 v21, v28
	v_lshlrev_b64 v[20:21], 3, v[20:21]
	v_mov_b32_e32 v34, s3
	v_add_co_u32_e32 v20, vcc, s10, v20
	v_addc_co_u32_e32 v21, vcc, v31, v21, vcc
	s_mov_b32 s0, 0xdca01dca
	s_mov_b32 s1, 0x3f5dca01
	s_waitcnt vmcnt(5) lgkmcnt(1)
	v_mul_f32_e32 v31, v1, v11
	v_mul_f32_e32 v11, v0, v11
	s_waitcnt vmcnt(3) lgkmcnt(0)
	v_mul_f32_e32 v35, v5, v15
	v_mul_f32_e32 v15, v4, v15
	s_waitcnt vmcnt(2)
	v_mul_f32_e32 v36, v7, v17
	v_mul_f32_e32 v17, v6, v17
	s_waitcnt vmcnt(1)
	v_mad_u64_u32 v[29:30], s[4:5], s5, v63, v[23:24]
	v_mov_b32_e32 v30, s3
	v_fmac_f32_e32 v31, v0, v10
	v_mov_b32_e32 v23, v29
	v_lshlrev_b64 v[22:23], 3, v[22:23]
	v_fma_f32 v10, v10, v1, -v11
	v_add_co_u32_e32 v20, vcc, v20, v22
	v_addc_co_u32_e32 v21, vcc, v21, v23, vcc
	v_add_co_u32_e32 v22, vcc, s2, v20
	v_addc_co_u32_e32 v23, vcc, v21, v30, vcc
	v_mul_f32_e32 v30, v19, v9
	v_mul_f32_e32 v9, v18, v9
	v_fmac_f32_e32 v30, v18, v8
	v_fma_f32 v18, v8, v19, -v9
	global_load_dwordx2 v[8:9], v62, s[8:9] offset:2800
	v_add_co_u32_e32 v28, vcc, s2, v22
	v_addc_co_u32_e32 v29, vcc, v23, v34, vcc
	v_mul_f32_e32 v34, v3, v13
	v_mul_f32_e32 v13, v2, v13
	v_fmac_f32_e32 v34, v2, v12
	v_fma_f32 v12, v12, v3, -v13
	v_cvt_f64_f32_e32 v[0:1], v30
	v_cvt_f64_f32_e32 v[2:3], v18
	v_fmac_f32_e32 v35, v4, v14
	v_fma_f32 v19, v14, v5, -v15
	v_fmac_f32_e32 v36, v6, v16
	v_fma_f32 v37, v16, v7, -v17
	v_cvt_f64_f32_e32 v[4:5], v31
	global_load_dwordx2 v[30:31], v62, s[8:9] offset:3200
	v_cvt_f64_f32_e32 v[6:7], v10
	v_cvt_f64_f32_e32 v[10:11], v34
	v_cvt_f64_f32_e32 v[12:13], v12
	v_mul_f64 v[0:1], v[0:1], s[0:1]
	v_mul_f64 v[2:3], v[2:3], s[0:1]
	;; [unrolled: 1-line block ×6, first 2 shown]
	v_cvt_f64_f32_e32 v[16:17], v19
	v_cvt_f64_f32_e32 v[14:15], v35
	v_cvt_f32_f64_e32 v0, v[0:1]
	v_cvt_f32_f64_e32 v1, v[2:3]
	v_cvt_f32_f64_e32 v2, v[4:5]
	v_cvt_f32_f64_e32 v3, v[6:7]
	v_cvt_f32_f64_e32 v4, v[10:11]
	v_cvt_f32_f64_e32 v5, v[12:13]
	global_store_dwordx2 v[20:21], v[0:1], off
	global_store_dwordx2 v[22:23], v[2:3], off
	;; [unrolled: 1-line block ×3, first 2 shown]
	v_mul_f64 v[16:17], v[16:17], s[0:1]
	global_load_dwordx2 v[4:5], v62, s[8:9] offset:3600
	v_mul_f64 v[14:15], v[14:15], s[0:1]
	v_cvt_f64_f32_e32 v[0:1], v37
	v_cvt_f64_f32_e32 v[18:19], v36
	v_mul_f64 v[12:13], v[0:1], s[0:1]
	v_cvt_f32_f64_e32 v7, v[16:17]
	global_load_dwordx2 v[16:17], v62, s[8:9] offset:4000
	ds_read2_b64 v[0:3], v33 offset0:122 offset1:172
	v_cvt_f32_f64_e32 v6, v[14:15]
	v_mov_b32_e32 v15, s3
	v_add_co_u32_e32 v14, vcc, s2, v28
	v_addc_co_u32_e32 v15, vcc, v29, v15, vcc
	global_store_dwordx2 v[14:15], v[6:7], off
	s_waitcnt lgkmcnt(0)
	v_mul_f32_e32 v6, v1, v25
	v_fmac_f32_e32 v6, v0, v24
	v_cvt_f64_f32_e32 v[6:7], v6
	v_mul_f32_e32 v0, v0, v25
	v_fma_f32 v0, v24, v1, -v0
	v_mul_f64 v[10:11], v[18:19], s[0:1]
	v_mul_f64 v[6:7], v[6:7], s[0:1]
	v_cvt_f64_f32_e32 v[0:1], v0
	v_mov_b32_e32 v18, s3
	v_mul_f64 v[0:1], v[0:1], s[0:1]
	v_cvt_f32_f64_e32 v10, v[10:11]
	v_cvt_f32_f64_e32 v6, v[6:7]
	s_waitcnt vmcnt(8)
	v_mul_f32_e32 v7, v3, v27
	v_fmac_f32_e32 v7, v2, v26
	v_mul_f32_e32 v2, v2, v27
	v_fma_f32 v2, v26, v3, -v2
	v_cvt_f32_f64_e32 v11, v[12:13]
	v_cvt_f64_f32_e32 v[2:3], v2
	v_mov_b32_e32 v13, s3
	v_add_co_u32_e32 v12, vcc, s2, v14
	v_addc_co_u32_e32 v13, vcc, v15, v13, vcc
	global_store_dwordx2 v[12:13], v[10:11], off
	v_cvt_f64_f32_e32 v[10:11], v7
	v_cvt_f32_f64_e32 v7, v[0:1]
	v_mul_f64 v[14:15], v[2:3], s[0:1]
	ds_read2_b64 v[0:3], v32 offset0:94 offset1:144
	v_add_co_u32_e32 v12, vcc, s2, v12
	v_addc_co_u32_e32 v13, vcc, v13, v18, vcc
	global_store_dwordx2 v[12:13], v[6:7], off
	s_waitcnt vmcnt(9) lgkmcnt(0)
	v_mul_f32_e32 v6, v1, v9
	v_fmac_f32_e32 v6, v0, v8
	v_cvt_f64_f32_e32 v[6:7], v6
	v_mul_f64 v[10:11], v[10:11], s[0:1]
	v_mul_f32_e32 v0, v0, v9
	v_fma_f32 v0, v8, v1, -v0
	v_mul_f64 v[6:7], v[6:7], s[0:1]
	v_cvt_f64_f32_e32 v[0:1], v0
	v_add_co_u32_e32 v8, vcc, s2, v12
	v_cvt_f32_f64_e32 v10, v[10:11]
	v_cvt_f32_f64_e32 v11, v[14:15]
	v_mov_b32_e32 v14, s3
	v_mul_f64 v[0:1], v[0:1], s[0:1]
	v_cvt_f32_f64_e32 v6, v[6:7]
	s_waitcnt vmcnt(8)
	v_mul_f32_e32 v7, v3, v31
	v_addc_co_u32_e32 v9, vcc, v13, v14, vcc
	v_fmac_f32_e32 v7, v2, v30
	global_store_dwordx2 v[8:9], v[10:11], off
	v_cvt_f64_f32_e32 v[10:11], v7
	v_mul_f32_e32 v2, v2, v31
	v_fma_f32 v2, v30, v3, -v2
	v_cvt_f64_f32_e32 v[2:3], v2
	v_mul_f64 v[10:11], v[10:11], s[0:1]
	v_cvt_f32_f64_e32 v7, v[0:1]
	v_mov_b32_e32 v0, s3
	v_add_co_u32_e32 v8, vcc, s2, v8
	v_mul_f64 v[12:13], v[2:3], s[0:1]
	v_addc_co_u32_e32 v9, vcc, v9, v0, vcc
	ds_read2_b64 v[0:3], v32 offset0:194 offset1:244
	global_store_dwordx2 v[8:9], v[6:7], off
	v_cvt_f32_f64_e32 v6, v[10:11]
	s_waitcnt vmcnt(6) lgkmcnt(0)
	v_mul_f32_e32 v10, v1, v5
	v_fmac_f32_e32 v10, v0, v4
	v_mul_f32_e32 v0, v0, v5
	v_fma_f32 v0, v4, v1, -v0
	v_cvt_f32_f64_e32 v7, v[12:13]
	v_cvt_f64_f32_e32 v[10:11], v10
	v_cvt_f64_f32_e32 v[0:1], v0
	v_mov_b32_e32 v12, s3
	v_add_co_u32_e32 v4, vcc, s2, v8
	v_addc_co_u32_e32 v5, vcc, v9, v12, vcc
	global_store_dwordx2 v[4:5], v[6:7], off
	v_mul_f64 v[6:7], v[10:11], s[0:1]
	v_mul_f64 v[0:1], v[0:1], s[0:1]
	s_waitcnt vmcnt(6)
	v_mul_f32_e32 v8, v3, v17
	v_fmac_f32_e32 v8, v2, v16
	v_mul_f32_e32 v2, v2, v17
	v_fma_f32 v2, v16, v3, -v2
	v_cvt_f64_f32_e32 v[8:9], v8
	v_cvt_f64_f32_e32 v[2:3], v2
	v_cvt_f32_f64_e32 v6, v[6:7]
	v_cvt_f32_f64_e32 v7, v[0:1]
	v_mul_f64 v[0:1], v[8:9], s[0:1]
	v_mul_f64 v[2:3], v[2:3], s[0:1]
	v_mov_b32_e32 v8, s3
	v_add_co_u32_e32 v4, vcc, s2, v4
	v_addc_co_u32_e32 v5, vcc, v5, v8, vcc
	global_store_dwordx2 v[4:5], v[6:7], off
	v_cvt_f32_f64_e32 v0, v[0:1]
	v_cvt_f32_f64_e32 v1, v[2:3]
	v_mov_b32_e32 v3, s3
	v_add_co_u32_e32 v2, vcc, s2, v4
	v_addc_co_u32_e32 v3, vcc, v5, v3, vcc
	global_store_dwordx2 v[2:3], v[0:1], off
.LBB0_15:
	s_endpgm
	.section	.rodata,"a",@progbits
	.p2align	6, 0x0
	.amdhsa_kernel bluestein_single_fwd_len550_dim1_sp_op_CI_CI
		.amdhsa_group_segment_fixed_size 4400
		.amdhsa_private_segment_fixed_size 0
		.amdhsa_kernarg_size 104
		.amdhsa_user_sgpr_count 6
		.amdhsa_user_sgpr_private_segment_buffer 1
		.amdhsa_user_sgpr_dispatch_ptr 0
		.amdhsa_user_sgpr_queue_ptr 0
		.amdhsa_user_sgpr_kernarg_segment_ptr 1
		.amdhsa_user_sgpr_dispatch_id 0
		.amdhsa_user_sgpr_flat_scratch_init 0
		.amdhsa_user_sgpr_private_segment_size 0
		.amdhsa_uses_dynamic_stack 0
		.amdhsa_system_sgpr_private_segment_wavefront_offset 0
		.amdhsa_system_sgpr_workgroup_id_x 1
		.amdhsa_system_sgpr_workgroup_id_y 0
		.amdhsa_system_sgpr_workgroup_id_z 0
		.amdhsa_system_sgpr_workgroup_info 0
		.amdhsa_system_vgpr_workitem_id 0
		.amdhsa_next_free_vgpr 117
		.amdhsa_next_free_sgpr 18
		.amdhsa_reserve_vcc 1
		.amdhsa_reserve_flat_scratch 0
		.amdhsa_float_round_mode_32 0
		.amdhsa_float_round_mode_16_64 0
		.amdhsa_float_denorm_mode_32 3
		.amdhsa_float_denorm_mode_16_64 3
		.amdhsa_dx10_clamp 1
		.amdhsa_ieee_mode 1
		.amdhsa_fp16_overflow 0
		.amdhsa_exception_fp_ieee_invalid_op 0
		.amdhsa_exception_fp_denorm_src 0
		.amdhsa_exception_fp_ieee_div_zero 0
		.amdhsa_exception_fp_ieee_overflow 0
		.amdhsa_exception_fp_ieee_underflow 0
		.amdhsa_exception_fp_ieee_inexact 0
		.amdhsa_exception_int_div_zero 0
	.end_amdhsa_kernel
	.text
.Lfunc_end0:
	.size	bluestein_single_fwd_len550_dim1_sp_op_CI_CI, .Lfunc_end0-bluestein_single_fwd_len550_dim1_sp_op_CI_CI
                                        ; -- End function
	.section	.AMDGPU.csdata,"",@progbits
; Kernel info:
; codeLenInByte = 11300
; NumSgprs: 22
; NumVgprs: 117
; ScratchSize: 0
; MemoryBound: 0
; FloatMode: 240
; IeeeMode: 1
; LDSByteSize: 4400 bytes/workgroup (compile time only)
; SGPRBlocks: 2
; VGPRBlocks: 29
; NumSGPRsForWavesPerEU: 22
; NumVGPRsForWavesPerEU: 117
; Occupancy: 2
; WaveLimiterHint : 1
; COMPUTE_PGM_RSRC2:SCRATCH_EN: 0
; COMPUTE_PGM_RSRC2:USER_SGPR: 6
; COMPUTE_PGM_RSRC2:TRAP_HANDLER: 0
; COMPUTE_PGM_RSRC2:TGID_X_EN: 1
; COMPUTE_PGM_RSRC2:TGID_Y_EN: 0
; COMPUTE_PGM_RSRC2:TGID_Z_EN: 0
; COMPUTE_PGM_RSRC2:TIDIG_COMP_CNT: 0
	.type	__hip_cuid_f668fbe462d83e1,@object ; @__hip_cuid_f668fbe462d83e1
	.section	.bss,"aw",@nobits
	.globl	__hip_cuid_f668fbe462d83e1
__hip_cuid_f668fbe462d83e1:
	.byte	0                               ; 0x0
	.size	__hip_cuid_f668fbe462d83e1, 1

	.ident	"AMD clang version 19.0.0git (https://github.com/RadeonOpenCompute/llvm-project roc-6.4.0 25133 c7fe45cf4b819c5991fe208aaa96edf142730f1d)"
	.section	".note.GNU-stack","",@progbits
	.addrsig
	.addrsig_sym __hip_cuid_f668fbe462d83e1
	.amdgpu_metadata
---
amdhsa.kernels:
  - .args:
      - .actual_access:  read_only
        .address_space:  global
        .offset:         0
        .size:           8
        .value_kind:     global_buffer
      - .actual_access:  read_only
        .address_space:  global
        .offset:         8
        .size:           8
        .value_kind:     global_buffer
      - .actual_access:  read_only
        .address_space:  global
        .offset:         16
        .size:           8
        .value_kind:     global_buffer
      - .actual_access:  read_only
        .address_space:  global
        .offset:         24
        .size:           8
        .value_kind:     global_buffer
      - .actual_access:  read_only
        .address_space:  global
        .offset:         32
        .size:           8
        .value_kind:     global_buffer
      - .offset:         40
        .size:           8
        .value_kind:     by_value
      - .address_space:  global
        .offset:         48
        .size:           8
        .value_kind:     global_buffer
      - .address_space:  global
        .offset:         56
        .size:           8
        .value_kind:     global_buffer
      - .address_space:  global
        .offset:         64
        .size:           8
        .value_kind:     global_buffer
      - .address_space:  global
        .offset:         72
        .size:           8
        .value_kind:     global_buffer
      - .offset:         80
        .size:           4
        .value_kind:     by_value
      - .address_space:  global
        .offset:         88
        .size:           8
        .value_kind:     global_buffer
      - .address_space:  global
        .offset:         96
        .size:           8
        .value_kind:     global_buffer
    .group_segment_fixed_size: 4400
    .kernarg_segment_align: 8
    .kernarg_segment_size: 104
    .language:       OpenCL C
    .language_version:
      - 2
      - 0
    .max_flat_workgroup_size: 55
    .name:           bluestein_single_fwd_len550_dim1_sp_op_CI_CI
    .private_segment_fixed_size: 0
    .sgpr_count:     22
    .sgpr_spill_count: 0
    .symbol:         bluestein_single_fwd_len550_dim1_sp_op_CI_CI.kd
    .uniform_work_group_size: 1
    .uses_dynamic_stack: false
    .vgpr_count:     117
    .vgpr_spill_count: 0
    .wavefront_size: 64
amdhsa.target:   amdgcn-amd-amdhsa--gfx906
amdhsa.version:
  - 1
  - 2
...

	.end_amdgpu_metadata
